;; amdgpu-corpus repo=ROCm/rocFFT kind=compiled arch=gfx1030 opt=O3
	.text
	.amdgcn_target "amdgcn-amd-amdhsa--gfx1030"
	.amdhsa_code_object_version 6
	.protected	fft_rtc_back_len1666_factors_17_2_7_7_wgs_119_tpt_119_halfLds_dp_ip_CI_unitstride_sbrr_dirReg ; -- Begin function fft_rtc_back_len1666_factors_17_2_7_7_wgs_119_tpt_119_halfLds_dp_ip_CI_unitstride_sbrr_dirReg
	.globl	fft_rtc_back_len1666_factors_17_2_7_7_wgs_119_tpt_119_halfLds_dp_ip_CI_unitstride_sbrr_dirReg
	.p2align	8
	.type	fft_rtc_back_len1666_factors_17_2_7_7_wgs_119_tpt_119_halfLds_dp_ip_CI_unitstride_sbrr_dirReg,@function
fft_rtc_back_len1666_factors_17_2_7_7_wgs_119_tpt_119_halfLds_dp_ip_CI_unitstride_sbrr_dirReg: ; @fft_rtc_back_len1666_factors_17_2_7_7_wgs_119_tpt_119_halfLds_dp_ip_CI_unitstride_sbrr_dirReg
; %bb.0:
	s_clause 0x2
	s_load_dwordx4 s[8:11], s[4:5], 0x0
	s_load_dwordx2 s[2:3], s[4:5], 0x50
	s_load_dwordx2 s[12:13], s[4:5], 0x18
	v_mul_u32_u24_e32 v1, 0x227, v0
	v_mov_b32_e32 v3, 0
	v_add_nc_u32_sdwa v5, s6, v1 dst_sel:DWORD dst_unused:UNUSED_PAD src0_sel:DWORD src1_sel:WORD_1
	v_mov_b32_e32 v1, 0
	v_mov_b32_e32 v6, v3
	v_mov_b32_e32 v2, 0
	s_waitcnt lgkmcnt(0)
	v_cmp_lt_u64_e64 s0, s[10:11], 2
	s_and_b32 vcc_lo, exec_lo, s0
	s_cbranch_vccnz .LBB0_8
; %bb.1:
	s_load_dwordx2 s[0:1], s[4:5], 0x10
	v_mov_b32_e32 v1, 0
	s_add_u32 s6, s12, 8
	v_mov_b32_e32 v2, 0
	s_addc_u32 s7, s13, 0
	s_mov_b64 s[16:17], 1
	s_waitcnt lgkmcnt(0)
	s_add_u32 s14, s0, 8
	s_addc_u32 s15, s1, 0
.LBB0_2:                                ; =>This Inner Loop Header: Depth=1
	s_load_dwordx2 s[18:19], s[14:15], 0x0
                                        ; implicit-def: $vgpr7_vgpr8
	s_mov_b32 s0, exec_lo
	s_waitcnt lgkmcnt(0)
	v_or_b32_e32 v4, s19, v6
	v_cmpx_ne_u64_e32 0, v[3:4]
	s_xor_b32 s1, exec_lo, s0
	s_cbranch_execz .LBB0_4
; %bb.3:                                ;   in Loop: Header=BB0_2 Depth=1
	v_cvt_f32_u32_e32 v4, s18
	v_cvt_f32_u32_e32 v7, s19
	s_sub_u32 s0, 0, s18
	s_subb_u32 s20, 0, s19
	v_fmac_f32_e32 v4, 0x4f800000, v7
	v_rcp_f32_e32 v4, v4
	v_mul_f32_e32 v4, 0x5f7ffffc, v4
	v_mul_f32_e32 v7, 0x2f800000, v4
	v_trunc_f32_e32 v7, v7
	v_fmac_f32_e32 v4, 0xcf800000, v7
	v_cvt_u32_f32_e32 v7, v7
	v_cvt_u32_f32_e32 v4, v4
	v_mul_lo_u32 v8, s0, v7
	v_mul_hi_u32 v9, s0, v4
	v_mul_lo_u32 v10, s20, v4
	v_add_nc_u32_e32 v8, v9, v8
	v_mul_lo_u32 v9, s0, v4
	v_add_nc_u32_e32 v8, v8, v10
	v_mul_hi_u32 v10, v4, v9
	v_mul_lo_u32 v11, v4, v8
	v_mul_hi_u32 v12, v4, v8
	v_mul_hi_u32 v13, v7, v9
	v_mul_lo_u32 v9, v7, v9
	v_mul_hi_u32 v14, v7, v8
	v_mul_lo_u32 v8, v7, v8
	v_add_co_u32 v10, vcc_lo, v10, v11
	v_add_co_ci_u32_e32 v11, vcc_lo, 0, v12, vcc_lo
	v_add_co_u32 v9, vcc_lo, v10, v9
	v_add_co_ci_u32_e32 v9, vcc_lo, v11, v13, vcc_lo
	v_add_co_ci_u32_e32 v10, vcc_lo, 0, v14, vcc_lo
	v_add_co_u32 v8, vcc_lo, v9, v8
	v_add_co_ci_u32_e32 v9, vcc_lo, 0, v10, vcc_lo
	v_add_co_u32 v4, vcc_lo, v4, v8
	v_add_co_ci_u32_e32 v7, vcc_lo, v7, v9, vcc_lo
	v_mul_hi_u32 v8, s0, v4
	v_mul_lo_u32 v10, s20, v4
	v_mul_lo_u32 v9, s0, v7
	v_add_nc_u32_e32 v8, v8, v9
	v_mul_lo_u32 v9, s0, v4
	v_add_nc_u32_e32 v8, v8, v10
	v_mul_hi_u32 v10, v4, v9
	v_mul_lo_u32 v11, v4, v8
	v_mul_hi_u32 v12, v4, v8
	v_mul_hi_u32 v13, v7, v9
	v_mul_lo_u32 v9, v7, v9
	v_mul_hi_u32 v14, v7, v8
	v_mul_lo_u32 v8, v7, v8
	v_add_co_u32 v10, vcc_lo, v10, v11
	v_add_co_ci_u32_e32 v11, vcc_lo, 0, v12, vcc_lo
	v_add_co_u32 v9, vcc_lo, v10, v9
	v_add_co_ci_u32_e32 v9, vcc_lo, v11, v13, vcc_lo
	v_add_co_ci_u32_e32 v10, vcc_lo, 0, v14, vcc_lo
	v_add_co_u32 v8, vcc_lo, v9, v8
	v_add_co_ci_u32_e32 v9, vcc_lo, 0, v10, vcc_lo
	v_add_co_u32 v4, vcc_lo, v4, v8
	v_add_co_ci_u32_e32 v11, vcc_lo, v7, v9, vcc_lo
	v_mul_hi_u32 v13, v5, v4
	v_mad_u64_u32 v[9:10], null, v6, v4, 0
	v_mad_u64_u32 v[7:8], null, v5, v11, 0
	;; [unrolled: 1-line block ×3, first 2 shown]
	v_add_co_u32 v4, vcc_lo, v13, v7
	v_add_co_ci_u32_e32 v7, vcc_lo, 0, v8, vcc_lo
	v_add_co_u32 v4, vcc_lo, v4, v9
	v_add_co_ci_u32_e32 v4, vcc_lo, v7, v10, vcc_lo
	v_add_co_ci_u32_e32 v7, vcc_lo, 0, v12, vcc_lo
	v_add_co_u32 v4, vcc_lo, v4, v11
	v_add_co_ci_u32_e32 v9, vcc_lo, 0, v7, vcc_lo
	v_mul_lo_u32 v10, s19, v4
	v_mad_u64_u32 v[7:8], null, s18, v4, 0
	v_mul_lo_u32 v11, s18, v9
	v_sub_co_u32 v7, vcc_lo, v5, v7
	v_add3_u32 v8, v8, v11, v10
	v_sub_nc_u32_e32 v10, v6, v8
	v_subrev_co_ci_u32_e64 v10, s0, s19, v10, vcc_lo
	v_add_co_u32 v11, s0, v4, 2
	v_add_co_ci_u32_e64 v12, s0, 0, v9, s0
	v_sub_co_u32 v13, s0, v7, s18
	v_sub_co_ci_u32_e32 v8, vcc_lo, v6, v8, vcc_lo
	v_subrev_co_ci_u32_e64 v10, s0, 0, v10, s0
	v_cmp_le_u32_e32 vcc_lo, s18, v13
	v_cmp_eq_u32_e64 s0, s19, v8
	v_cndmask_b32_e64 v13, 0, -1, vcc_lo
	v_cmp_le_u32_e32 vcc_lo, s19, v10
	v_cndmask_b32_e64 v14, 0, -1, vcc_lo
	v_cmp_le_u32_e32 vcc_lo, s18, v7
	;; [unrolled: 2-line block ×3, first 2 shown]
	v_cndmask_b32_e64 v15, 0, -1, vcc_lo
	v_cmp_eq_u32_e32 vcc_lo, s19, v10
	v_cndmask_b32_e64 v7, v15, v7, s0
	v_cndmask_b32_e32 v10, v14, v13, vcc_lo
	v_add_co_u32 v13, vcc_lo, v4, 1
	v_add_co_ci_u32_e32 v14, vcc_lo, 0, v9, vcc_lo
	v_cmp_ne_u32_e32 vcc_lo, 0, v10
	v_cndmask_b32_e32 v8, v14, v12, vcc_lo
	v_cndmask_b32_e32 v10, v13, v11, vcc_lo
	v_cmp_ne_u32_e32 vcc_lo, 0, v7
	v_cndmask_b32_e32 v8, v9, v8, vcc_lo
	v_cndmask_b32_e32 v7, v4, v10, vcc_lo
.LBB0_4:                                ;   in Loop: Header=BB0_2 Depth=1
	s_andn2_saveexec_b32 s0, s1
	s_cbranch_execz .LBB0_6
; %bb.5:                                ;   in Loop: Header=BB0_2 Depth=1
	v_cvt_f32_u32_e32 v4, s18
	s_sub_i32 s1, 0, s18
	v_rcp_iflag_f32_e32 v4, v4
	v_mul_f32_e32 v4, 0x4f7ffffe, v4
	v_cvt_u32_f32_e32 v4, v4
	v_mul_lo_u32 v7, s1, v4
	v_mul_hi_u32 v7, v4, v7
	v_add_nc_u32_e32 v4, v4, v7
	v_mul_hi_u32 v4, v5, v4
	v_mul_lo_u32 v7, v4, s18
	v_add_nc_u32_e32 v8, 1, v4
	v_sub_nc_u32_e32 v7, v5, v7
	v_subrev_nc_u32_e32 v9, s18, v7
	v_cmp_le_u32_e32 vcc_lo, s18, v7
	v_cndmask_b32_e32 v7, v7, v9, vcc_lo
	v_cndmask_b32_e32 v4, v4, v8, vcc_lo
	v_cmp_le_u32_e32 vcc_lo, s18, v7
	v_add_nc_u32_e32 v8, 1, v4
	v_cndmask_b32_e32 v7, v4, v8, vcc_lo
	v_mov_b32_e32 v8, v3
.LBB0_6:                                ;   in Loop: Header=BB0_2 Depth=1
	s_or_b32 exec_lo, exec_lo, s0
	s_load_dwordx2 s[0:1], s[6:7], 0x0
	v_mul_lo_u32 v4, v8, s18
	v_mul_lo_u32 v11, v7, s19
	v_mad_u64_u32 v[9:10], null, v7, s18, 0
	s_add_u32 s16, s16, 1
	s_addc_u32 s17, s17, 0
	s_add_u32 s6, s6, 8
	s_addc_u32 s7, s7, 0
	;; [unrolled: 2-line block ×3, first 2 shown]
	v_add3_u32 v4, v10, v11, v4
	v_sub_co_u32 v5, vcc_lo, v5, v9
	v_sub_co_ci_u32_e32 v4, vcc_lo, v6, v4, vcc_lo
	s_waitcnt lgkmcnt(0)
	v_mul_lo_u32 v6, s1, v5
	v_mul_lo_u32 v4, s0, v4
	v_mad_u64_u32 v[1:2], null, s0, v5, v[1:2]
	v_cmp_ge_u64_e64 s0, s[16:17], s[10:11]
	s_and_b32 vcc_lo, exec_lo, s0
	v_add3_u32 v2, v6, v2, v4
	s_cbranch_vccnz .LBB0_9
; %bb.7:                                ;   in Loop: Header=BB0_2 Depth=1
	v_mov_b32_e32 v5, v7
	v_mov_b32_e32 v6, v8
	s_branch .LBB0_2
.LBB0_8:
	v_mov_b32_e32 v8, v6
	v_mov_b32_e32 v7, v5
.LBB0_9:
	s_lshl_b64 s[0:1], s[10:11], 3
	v_mul_hi_u32 v3, 0x226b903, v0
	s_add_u32 s0, s12, s0
	s_addc_u32 s1, s13, s1
                                        ; implicit-def: $vgpr18_vgpr19
                                        ; implicit-def: $vgpr22_vgpr23
                                        ; implicit-def: $vgpr26_vgpr27
                                        ; implicit-def: $vgpr30_vgpr31
                                        ; implicit-def: $vgpr38_vgpr39
                                        ; implicit-def: $vgpr46_vgpr47
                                        ; implicit-def: $vgpr10_vgpr11
                                        ; implicit-def: $vgpr34_vgpr35
                                        ; implicit-def: $vgpr42_vgpr43
                                        ; implicit-def: $vgpr50_vgpr51
                                        ; implicit-def: $vgpr54_vgpr55
                                        ; implicit-def: $vgpr58_vgpr59
                                        ; implicit-def: $vgpr62_vgpr63
                                        ; implicit-def: $vgpr66_vgpr67
                                        ; implicit-def: $vgpr14_vgpr15
	s_load_dwordx2 s[0:1], s[0:1], 0x0
	s_load_dwordx2 s[4:5], s[4:5], 0x20
	v_mul_u32_u24_e32 v3, 0x77, v3
	v_sub_nc_u32_e32 v96, v0, v3
	s_waitcnt lgkmcnt(0)
	v_mul_lo_u32 v4, s0, v8
	v_mul_lo_u32 v5, s1, v7
	v_mad_u64_u32 v[1:2], null, s0, v7, v[1:2]
	v_cmp_gt_u64_e32 vcc_lo, s[4:5], v[7:8]
	v_cmp_gt_u32_e64 s0, 0x62, v96
                                        ; implicit-def: $vgpr6_vgpr7
	s_and_b32 s1, vcc_lo, s0
	v_add3_u32 v2, v5, v2, v4
	v_lshlrev_b64 v[98:99], 4, v[1:2]
                                        ; implicit-def: $vgpr2_vgpr3
	s_and_saveexec_b32 s4, s1
	s_cbranch_execz .LBB0_11
; %bb.10:
	v_mov_b32_e32 v97, 0
	v_add_co_u32 v2, s1, s2, v98
	v_add_co_ci_u32_e64 v3, s1, s3, v99, s1
	v_lshlrev_b64 v[0:1], 4, v[96:97]
	v_add_co_u32 v4, s1, v2, v0
	v_add_co_ci_u32_e64 v5, s1, v3, v1, s1
	v_add_co_u32 v0, s1, 0x800, v4
	v_add_co_ci_u32_e64 v1, s1, 0, v5, s1
	;; [unrolled: 2-line block ×3, first 2 shown]
	s_clause 0x3
	global_load_dwordx4 v[12:15], v[4:5], off
	global_load_dwordx4 v[64:67], v[4:5], off offset:1568
	global_load_dwordx4 v[60:63], v[0:1], off offset:1088
	;; [unrolled: 1-line block ×3, first 2 shown]
	v_add_co_u32 v0, s1, 0x1800, v4
	v_add_co_ci_u32_e64 v1, s1, 0, v5, s1
	v_add_co_u32 v2, s1, 0x2000, v4
	v_add_co_ci_u32_e64 v3, s1, 0, v5, s1
	v_add_co_u32 v6, s1, 0x2800, v4
	v_add_co_ci_u32_e64 v7, s1, 0, v5, s1
	v_add_co_u32 v8, s1, 0x3000, v4
	v_add_co_ci_u32_e64 v9, s1, 0, v5, s1
	s_clause 0x5
	global_load_dwordx4 v[52:55], v[0:1], off offset:128
	global_load_dwordx4 v[48:51], v[0:1], off offset:1696
	;; [unrolled: 1-line block ×6, first 2 shown]
	v_add_co_u32 v6, s1, 0x3800, v4
	v_add_co_ci_u32_e64 v7, s1, 0, v5, s1
	v_add_co_u32 v16, s1, 0x4000, v4
	v_add_co_ci_u32_e64 v17, s1, 0, v5, s1
	;; [unrolled: 2-line block ×6, first 2 shown]
	s_clause 0x6
	global_load_dwordx4 v[44:47], v[6:7], off offset:1344
	global_load_dwordx4 v[36:39], v[16:17], off offset:864
	;; [unrolled: 1-line block ×7, first 2 shown]
.LBB0_11:
	s_or_b32 exec_lo, exec_lo, s4
	s_and_saveexec_b32 s1, s0
	s_cbranch_execz .LBB0_13
; %bb.12:
	s_waitcnt vmcnt(0)
	v_add_f64 v[70:71], v[4:5], v[64:65]
	s_mov_b32 s4, 0x2b2883cd
	s_mov_b32 s5, 0x3fdc86fa
	v_add_f64 v[68:69], v[66:67], -v[6:7]
	v_add_f64 v[76:77], v[16:17], v[60:61]
	s_mov_b32 s10, 0x7c9e640b
	s_mov_b32 s20, 0x6ed5f1bb
	;; [unrolled: 1-line block ×12, first 2 shown]
	v_add_f64 v[72:73], v[62:63], -v[18:19]
	v_add_f64 v[80:81], v[20:21], v[56:57]
	v_add_f64 v[132:133], v[64:65], v[12:13]
	s_mov_b32 s6, 0x6c9a05f6
	s_mov_b32 s16, 0xeb564b22
	v_mul_f64 v[74:75], v[70:71], s[4:5]
	v_mul_f64 v[78:79], v[70:71], s[26:27]
	;; [unrolled: 1-line block ×7, first 2 shown]
	s_mov_b32 s14, 0x2a9d6da3
	s_mov_b32 s24, 0x7faef3
	;; [unrolled: 1-line block ×15, first 2 shown]
	v_fma_f64 v[116:117], v[68:69], s[10:11], v[74:75]
	s_mov_b32 s42, s38
	v_add_f64 v[84:85], v[58:59], -v[22:23]
	v_add_f64 v[86:87], v[24:25], v[52:53]
	v_mul_f64 v[90:91], v[76:77], s[18:19]
	v_fma_f64 v[118:119], v[68:69], s[14:15], v[78:79]
	v_mul_f64 v[104:105], v[76:77], s[36:37]
	v_fma_f64 v[120:121], v[68:69], s[40:41], v[92:93]
	v_mul_f64 v[102:103], v[80:81], s[24:25]
	v_mul_f64 v[106:107], v[76:77], s[24:25]
	;; [unrolled: 1-line block ×4, first 2 shown]
	v_fma_f64 v[122:123], v[72:73], s[12:13], v[88:89]
	v_fma_f64 v[124:125], v[68:69], s[16:17], v[94:95]
	;; [unrolled: 1-line block ×4, first 2 shown]
	v_add_f64 v[132:133], v[60:61], v[132:133]
	s_mov_b32 s22, 0xacd6c6b4
	s_mov_b32 s54, 0x370991
	;; [unrolled: 1-line block ×5, first 2 shown]
	v_add_f64 v[116:117], v[12:13], v[116:117]
	s_mov_b32 s47, 0x3feca52d
	s_mov_b32 s30, s22
	;; [unrolled: 1-line block ×3, first 2 shown]
	v_add_f64 v[82:83], v[54:55], -v[26:27]
	v_fma_f64 v[126:127], v[72:73], s[16:17], v[90:91]
	v_add_f64 v[118:119], v[12:13], v[118:119]
	v_mul_f64 v[134:135], v[80:81], s[26:27]
	v_fma_f64 v[136:137], v[72:73], s[38:39], v[104:105]
	v_add_f64 v[120:121], v[12:13], v[120:121]
	v_mul_f64 v[138:139], v[86:87], s[28:29]
	v_mul_f64 v[140:141], v[80:81], s[28:29]
	;; [unrolled: 1-line block ×4, first 2 shown]
	v_fma_f64 v[146:147], v[84:85], s[22:23], v[102:103]
	v_fma_f64 v[150:151], v[72:73], s[30:31], v[106:107]
	v_add_f64 v[124:125], v[12:13], v[124:125]
	v_fma_f64 v[152:153], v[72:73], s[46:47], v[114:115]
	v_add_f64 v[128:129], v[12:13], v[128:129]
	;; [unrolled: 2-line block ×3, first 2 shown]
	v_add_f64 v[156:157], v[28:29], v[48:49]
	v_add_f64 v[116:117], v[122:123], v[116:117]
	;; [unrolled: 1-line block ×3, first 2 shown]
	v_mul_f64 v[100:101], v[80:81], s[20:21]
	s_mov_b32 s48, 0x5d8e7cdc
	s_mov_b32 s45, 0x3fe58eea
	s_mov_b32 s44, s14
	s_mov_b32 s49, 0xbfd71e95
	v_add_f64 v[118:119], v[126:127], v[118:119]
	v_mul_f64 v[126:127], v[86:87], s[4:5]
	v_fma_f64 v[158:159], v[84:85], s[44:45], v[134:135]
	v_add_f64 v[120:121], v[136:137], v[120:121]
	v_add_f64 v[136:137], v[50:51], -v[30:31]
	v_mul_f64 v[160:161], v[86:87], s[54:55]
	v_mul_f64 v[162:163], v[86:87], s[20:21]
	v_fma_f64 v[166:167], v[82:83], s[34:35], v[138:139]
	v_fma_f64 v[168:169], v[84:85], s[34:35], v[140:141]
	v_add_f64 v[124:125], v[150:151], v[124:125]
	v_fma_f64 v[150:151], v[84:85], s[16:17], v[142:143]
	v_add_f64 v[128:129], v[152:153], v[128:129]
	;; [unrolled: 2-line block ×3, first 2 shown]
	v_mul_f64 v[154:155], v[156:157], s[26:27]
	v_add_f64 v[116:117], v[146:147], v[116:117]
	v_add_f64 v[132:133], v[52:53], v[132:133]
	v_fma_f64 v[148:149], v[84:85], s[12:13], v[100:101]
	v_mul_f64 v[122:123], v[86:87], s[24:25]
	s_mov_b32 s51, 0x3fd71e95
	s_mov_b32 s50, s48
	v_mul_f64 v[176:177], v[156:157], s[4:5]
	v_mul_f64 v[178:179], v[156:157], s[54:55]
	v_fma_f64 v[172:173], v[82:83], s[10:11], v[126:127]
	v_mul_f64 v[164:165], v[86:87], s[36:37]
	v_add_f64 v[120:121], v[158:159], v[120:121]
	v_add_f64 v[158:159], v[36:37], v[40:41]
	v_fma_f64 v[180:181], v[82:83], s[50:51], v[160:161]
	v_mul_f64 v[146:147], v[70:71], s[24:25]
	v_add_f64 v[184:185], v[42:43], -v[38:39]
	v_add_f64 v[190:191], v[44:45], v[32:33]
	v_add_f64 v[124:125], v[168:169], v[124:125]
	v_fma_f64 v[168:169], v[82:83], s[6:7], v[162:163]
	v_add_f64 v[128:129], v[150:151], v[128:129]
	v_mul_f64 v[170:171], v[156:157], s[36:37]
	v_add_f64 v[130:131], v[152:153], v[130:131]
	v_fma_f64 v[152:153], v[136:137], s[44:45], v[154:155]
	v_add_f64 v[116:117], v[166:167], v[116:117]
	v_add_f64 v[132:133], v[48:49], v[132:133]
	;; [unrolled: 1-line block ×3, first 2 shown]
	v_fma_f64 v[148:149], v[82:83], s[30:31], v[122:123]
	v_mul_f64 v[166:167], v[76:77], s[54:55]
	s_mov_b32 s53, 0x3fefdd0d
	v_fma_f64 v[198:199], v[136:137], s[10:11], v[176:177]
	s_mov_b32 s52, s16
	v_add_f64 v[204:205], v[34:35], -v[46:47]
	v_fma_f64 v[150:151], v[82:83], s[42:43], v[164:165]
	v_add_f64 v[120:121], v[172:173], v[120:121]
	v_mul_f64 v[172:173], v[158:159], s[36:37]
	v_mul_f64 v[70:71], v[70:71], s[54:55]
	v_fma_f64 v[182:183], v[68:69], s[22:23], v[146:147]
	v_fma_f64 v[112:113], v[68:69], s[38:39], v[112:113]
	v_mul_f64 v[212:213], v[190:191], s[20:21]
	v_add_f64 v[124:125], v[180:181], v[124:125]
	v_fma_f64 v[180:181], v[136:137], s[48:49], v[178:179]
	v_add_f64 v[128:129], v[168:169], v[128:129]
	v_fma_f64 v[186:187], v[136:137], s[38:39], v[170:171]
	v_mul_f64 v[188:189], v[158:159], s[54:55]
	v_fma_f64 v[146:147], v[68:69], s[30:31], v[146:147]
	v_add_f64 v[116:117], v[152:153], v[116:117]
	v_mul_f64 v[152:153], v[158:159], s[24:25]
	v_add_f64 v[132:133], v[40:41], v[132:133]
	v_add_f64 v[118:119], v[148:149], v[118:119]
	v_mul_f64 v[148:149], v[156:157], s[18:19]
	v_mul_f64 v[200:201], v[80:81], s[36:37]
	v_fma_f64 v[108:109], v[68:69], s[6:7], v[108:109]
	v_mul_f64 v[76:77], v[76:77], s[26:27]
	v_fma_f64 v[92:93], v[68:69], s[34:35], v[92:93]
	v_add_f64 v[130:131], v[150:151], v[130:131]
	v_fma_f64 v[150:151], v[72:73], s[48:49], v[166:167]
	v_fma_f64 v[210:211], v[184:185], s[42:43], v[172:173]
	;; [unrolled: 1-line block ×3, first 2 shown]
	v_add_f64 v[168:169], v[12:13], v[182:183]
	v_add_f64 v[112:113], v[12:13], v[112:113]
	v_mul_f64 v[202:203], v[158:159], s[26:27]
	v_add_f64 v[124:125], v[198:199], v[124:125]
	v_fma_f64 v[166:167], v[72:73], s[50:51], v[166:167]
	v_add_f64 v[128:129], v[180:181], v[128:129]
	v_fma_f64 v[94:95], v[68:69], s[52:53], v[94:95]
	v_fma_f64 v[74:75], v[68:69], s[46:47], v[74:75]
	v_add_f64 v[146:147], v[12:13], v[146:147]
	v_fma_f64 v[78:79], v[68:69], s[44:45], v[78:79]
	v_fma_f64 v[214:215], v[184:185], s[30:31], v[152:153]
	v_add_f64 v[132:133], v[32:33], v[132:133]
	v_add_f64 v[118:119], v[186:187], v[118:119]
	v_fma_f64 v[182:183], v[136:137], s[52:53], v[148:149]
	v_fma_f64 v[186:187], v[184:185], s[48:49], v[188:189]
	;; [unrolled: 1-line block ×3, first 2 shown]
	v_add_f64 v[108:109], v[12:13], v[108:109]
	v_mul_f64 v[80:81], v[80:81], s[4:5]
	v_fma_f64 v[104:105], v[72:73], s[42:43], v[104:105]
	v_add_f64 v[92:93], v[12:13], v[92:93]
	v_fma_f64 v[106:107], v[72:73], s[22:23], v[106:107]
	v_fma_f64 v[88:89], v[72:73], s[6:7], v[88:89]
	v_add_f64 v[150:151], v[150:151], v[168:169]
	v_fma_f64 v[168:169], v[84:85], s[38:39], v[200:201]
	v_add_f64 v[112:113], v[114:115], v[112:113]
	v_add_f64 v[124:125], v[210:211], v[124:125]
	v_fma_f64 v[210:211], v[204:205], s[6:7], v[212:213]
	v_fma_f64 v[200:201], v[84:85], s[42:43], v[200:201]
	v_add_f64 v[94:95], v[12:13], v[94:95]
	v_add_f64 v[74:75], v[12:13], v[74:75]
	;; [unrolled: 1-line block ×3, first 2 shown]
	v_fma_f64 v[90:91], v[72:73], s[52:53], v[90:91]
	v_add_f64 v[128:129], v[214:215], v[128:129]
	v_fma_f64 v[214:215], v[68:69], s[48:49], v[70:71]
	v_add_f64 v[132:133], v[0:1], v[132:133]
	v_add_f64 v[130:131], v[182:183], v[130:131]
	v_mul_f64 v[182:183], v[86:87], s[26:27]
	v_fma_f64 v[68:69], v[68:69], s[50:51], v[70:71]
	v_add_f64 v[116:117], v[186:187], v[116:117]
	v_fma_f64 v[186:187], v[184:185], s[14:15], v[202:203]
	v_add_f64 v[78:79], v[12:13], v[78:79]
	v_mul_f64 v[174:175], v[156:157], s[24:25]
	v_add_f64 v[108:109], v[110:111], v[108:109]
	v_fma_f64 v[110:111], v[84:85], s[50:51], v[144:145]
	v_mul_f64 v[86:87], v[86:87], s[18:19]
	v_add_f64 v[150:151], v[168:169], v[150:151]
	v_add_f64 v[92:93], v[104:105], v[92:93]
	v_fma_f64 v[104:105], v[84:85], s[14:15], v[134:135]
	v_add_f64 v[124:125], v[210:211], v[124:125]
	v_mul_f64 v[192:193], v[158:159], s[28:29]
	v_add_f64 v[94:95], v[106:107], v[94:95]
	v_fma_f64 v[106:107], v[84:85], s[40:41], v[140:141]
	v_add_f64 v[146:147], v[200:201], v[146:147]
	v_add_f64 v[74:75], v[88:89], v[74:75]
	v_fma_f64 v[88:89], v[84:85], s[30:31], v[102:103]
	v_add_f64 v[210:211], v[12:13], v[214:215]
	v_fma_f64 v[214:215], v[72:73], s[14:15], v[76:77]
	;; [unrolled: 2-line block ×3, first 2 shown]
	v_fma_f64 v[72:73], v[72:73], s[44:45], v[76:77]
	v_add_f64 v[12:13], v[12:13], v[68:69]
	v_fma_f64 v[132:133], v[84:85], s[52:53], v[142:143]
	v_fma_f64 v[76:77], v[84:85], s[10:11], v[80:81]
	v_add_f64 v[130:131], v[186:187], v[130:131]
	v_mul_f64 v[186:187], v[156:157], s[20:21]
	v_add_f64 v[78:79], v[90:91], v[78:79]
	v_fma_f64 v[90:91], v[84:85], s[6:7], v[100:101]
	v_fma_f64 v[80:81], v[84:85], s[46:47], v[80:81]
	v_mul_f64 v[194:195], v[158:159], s[18:19]
	v_fma_f64 v[196:197], v[136:137], s[30:31], v[174:175]
	v_fma_f64 v[100:101], v[82:83], s[12:13], v[162:163]
	v_add_f64 v[108:109], v[110:111], v[108:109]
	v_fma_f64 v[110:111], v[82:83], s[38:39], v[164:165]
	v_add_f64 v[92:93], v[104:105], v[92:93]
	v_fma_f64 v[104:105], v[82:83], s[46:47], v[126:127]
	v_mul_f64 v[126:127], v[156:157], s[28:29]
	v_add_f64 v[94:95], v[106:107], v[94:95]
	v_fma_f64 v[106:107], v[82:83], s[48:49], v[160:161]
	v_add_f64 v[142:143], v[214:215], v[210:211]
	v_add_f64 v[114:115], v[44:45], v[114:115]
	;; [unrolled: 1-line block ×3, first 2 shown]
	v_fma_f64 v[168:169], v[82:83], s[44:45], v[182:183]
	v_add_f64 v[12:13], v[72:73], v[12:13]
	v_add_f64 v[102:103], v[132:133], v[112:113]
	v_fma_f64 v[112:113], v[82:83], s[16:17], v[86:87]
	v_add_f64 v[74:75], v[88:89], v[74:75]
	v_fma_f64 v[140:141], v[136:137], s[12:13], v[186:187]
	v_fma_f64 v[88:89], v[82:83], s[40:41], v[138:139]
	v_add_f64 v[78:79], v[90:91], v[78:79]
	v_fma_f64 v[90:91], v[82:83], s[22:23], v[122:123]
	;; [unrolled: 3-line block ×3, first 2 shown]
	v_mul_f64 v[208:209], v[190:191], s[4:5]
	v_fma_f64 v[198:199], v[184:185], s[52:53], v[194:195]
	v_mul_f64 v[180:181], v[190:191], s[54:55]
	v_fma_f64 v[150:151], v[136:137], s[6:7], v[186:187]
	v_add_f64 v[108:109], v[110:111], v[108:109]
	v_fma_f64 v[86:87], v[136:137], s[50:51], v[178:179]
	v_add_f64 v[92:93], v[104:105], v[92:93]
	v_add_f64 v[76:77], v[76:77], v[142:143]
	;; [unrolled: 1-line block ×3, first 2 shown]
	v_fma_f64 v[104:105], v[136:137], s[40:41], v[126:127]
	v_add_f64 v[134:135], v[168:169], v[146:147]
	v_add_f64 v[12:13], v[80:81], v[12:13]
	;; [unrolled: 1-line block ×3, first 2 shown]
	v_mul_f64 v[102:103], v[158:159], s[4:5]
	v_mul_f64 v[122:123], v[158:159], s[20:21]
	v_add_f64 v[94:95], v[106:107], v[94:95]
	v_fma_f64 v[144:145], v[136:137], s[46:47], v[176:177]
	v_add_f64 v[74:75], v[88:89], v[74:75]
	v_fma_f64 v[146:147], v[136:137], s[14:15], v[154:155]
	;; [unrolled: 2-line block ×3, first 2 shown]
	v_fma_f64 v[126:127], v[136:137], s[34:35], v[126:127]
	v_mul_f64 v[206:207], v[190:191], s[18:19]
	v_add_f64 v[68:69], v[8:9], v[0:1]
	v_add_f64 v[118:119], v[196:197], v[118:119]
	v_fma_f64 v[196:197], v[204:205], s[46:47], v[208:209]
	v_add_f64 v[120:121], v[198:199], v[120:121]
	v_fma_f64 v[198:199], v[204:205], s[48:49], v[180:181]
	v_mul_f64 v[218:219], v[190:191], s[26:27]
	v_add_f64 v[76:77], v[112:113], v[76:77]
	v_fma_f64 v[112:113], v[136:137], s[16:17], v[148:149]
	v_add_f64 v[114:115], v[28:29], v[114:115]
	v_add_f64 v[134:135], v[140:141], v[134:135]
	v_fma_f64 v[140:141], v[136:137], s[22:23], v[174:175]
	v_add_f64 v[12:13], v[82:83], v[12:13]
	v_mul_f64 v[166:167], v[190:191], s[24:25]
	v_add_f64 v[70:71], v[150:151], v[70:71]
	v_fma_f64 v[148:149], v[184:185], s[10:11], v[102:103]
	v_mul_f64 v[136:137], v[190:191], s[28:29]
	v_fma_f64 v[102:103], v[184:185], s[46:47], v[102:103]
	v_add_f64 v[86:87], v[86:87], v[100:101]
	v_fma_f64 v[150:151], v[184:185], s[22:23], v[152:153]
	v_mul_f64 v[152:153], v[190:191], s[36:37]
	v_add_f64 v[94:95], v[144:145], v[94:95]
	v_fma_f64 v[144:145], v[184:185], s[38:39], v[172:173]
	v_add_f64 v[74:75], v[146:147], v[74:75]
	v_fma_f64 v[146:147], v[184:185], s[50:51], v[188:189]
	;; [unrolled: 2-line block ×3, first 2 shown]
	v_fma_f64 v[216:217], v[204:205], s[16:17], v[206:207]
	v_add_f64 v[84:85], v[2:3], -v[10:11]
	v_add_f64 v[76:77], v[104:105], v[76:77]
	v_add_f64 v[108:109], v[112:113], v[108:109]
	v_fma_f64 v[112:113], v[184:185], s[44:45], v[202:203]
	v_fma_f64 v[104:105], v[184:185], s[12:13], v[122:123]
	v_add_f64 v[114:115], v[24:25], v[114:115]
	v_add_f64 v[92:93], v[140:141], v[92:93]
	v_fma_f64 v[140:141], v[184:185], s[16:17], v[194:195]
	v_fma_f64 v[122:123], v[184:185], s[6:7], v[122:123]
	v_add_f64 v[12:13], v[126:127], v[12:13]
	v_mul_f64 v[72:73], v[68:69], s[36:37]
	v_mul_f64 v[132:133], v[68:69], s[54:55]
	;; [unrolled: 1-line block ×4, first 2 shown]
	v_add_f64 v[118:119], v[196:197], v[118:119]
	v_add_f64 v[120:121], v[198:199], v[120:121]
	v_fma_f64 v[196:197], v[204:205], s[44:45], v[218:219]
	v_fma_f64 v[198:199], v[204:205], s[30:31], v[166:167]
	v_mul_f64 v[82:83], v[68:69], s[28:29]
	v_mul_f64 v[100:101], v[68:69], s[4:5]
	v_add_f64 v[70:71], v[148:149], v[70:71]
	v_fma_f64 v[148:149], v[204:205], s[34:35], v[136:137]
	v_mul_f64 v[126:127], v[68:69], s[18:19]
	v_add_f64 v[102:103], v[102:103], v[134:135]
	v_fma_f64 v[134:135], v[204:205], s[40:41], v[136:137]
	v_add_f64 v[86:87], v[150:151], v[86:87]
	v_fma_f64 v[136:137], v[204:205], s[14:15], v[218:219]
	;; [unrolled: 2-line block ×4, first 2 shown]
	v_mul_f64 v[68:69], v[68:69], s[24:25]
	v_add_f64 v[114:115], v[20:21], v[114:115]
	v_add_f64 v[92:93], v[140:141], v[92:93]
	v_fma_f64 v[140:141], v[204:205], s[50:51], v[180:181]
	v_add_f64 v[94:95], v[144:145], v[94:95]
	v_fma_f64 v[144:145], v[204:205], s[12:13], v[212:213]
	;; [unrolled: 2-line block ×4, first 2 shown]
	v_fma_f64 v[152:153], v[204:205], s[38:39], v[152:153]
	v_add_f64 v[12:13], v[122:123], v[12:13]
	v_add_f64 v[116:117], v[216:217], v[116:117]
	v_fma_f64 v[80:81], v[84:85], s[42:43], v[72:73]
	v_fma_f64 v[110:111], v[84:85], s[50:51], v[132:133]
	;; [unrolled: 1-line block ×4, first 2 shown]
	v_add_f64 v[128:129], v[196:197], v[128:129]
	v_add_f64 v[130:131], v[198:199], v[130:131]
	v_fma_f64 v[150:151], v[84:85], s[40:41], v[82:83]
	v_fma_f64 v[122:123], v[84:85], s[46:47], v[100:101]
	v_add_f64 v[70:71], v[148:149], v[70:71]
	v_fma_f64 v[148:149], v[84:85], s[16:17], v[126:127]
	v_add_f64 v[102:103], v[134:135], v[102:103]
	;; [unrolled: 2-line block ×6, first 2 shown]
	v_add_f64 v[92:93], v[140:141], v[92:93]
	v_fma_f64 v[114:115], v[84:85], s[6:7], v[142:143]
	v_add_f64 v[94:95], v[144:145], v[94:95]
	v_fma_f64 v[134:135], v[84:85], s[14:15], v[138:139]
	;; [unrolled: 2-line block ×4, first 2 shown]
	v_fma_f64 v[68:69], v[84:85], s[22:23], v[68:69]
	v_add_f64 v[12:13], v[152:153], v[12:13]
	v_add_f64 v[80:81], v[80:81], v[116:117]
	;; [unrolled: 1-line block ×18, first 2 shown]
	v_mad_u32_u24 v68, 0x88, v96, 0
	ds_write2_b64 v68, v[84:85], v[80:81] offset0:2 offset1:3
	ds_write2_b64 v68, v[88:89], v[106:107] offset0:4 offset1:5
	;; [unrolled: 1-line block ×5, first 2 shown]
	ds_write2_b64 v68, v[100:101], v[76:77] offset1:1
	ds_write2_b64 v68, v[92:93], v[94:95] offset0:12 offset1:13
	ds_write2_b64 v68, v[72:73], v[74:75] offset0:14 offset1:15
	ds_write_b64 v68, v[12:13] offset:128
.LBB0_13:
	s_or_b32 exec_lo, exec_lo, s1
	v_lshl_add_u32 v100, v96, 3, 0
	s_waitcnt vmcnt(0) lgkmcnt(0)
	s_barrier
	buffer_gl0_inv
	v_add_nc_u32_e32 v12, 0x1400, v100
	v_add_nc_u32_e32 v13, 0x1c00, v100
	;; [unrolled: 1-line block ×6, first 2 shown]
	ds_read2_b64 v[68:71], v100 offset1:119
	ds_read2_b64 v[72:75], v12 offset0:74 offset1:193
	ds_read2_b64 v[84:87], v13 offset0:56 offset1:175
	;; [unrolled: 1-line block ×6, first 2 shown]
	s_waitcnt lgkmcnt(0)
	s_barrier
	buffer_gl0_inv
	s_and_saveexec_b32 s33, s0
	s_cbranch_execz .LBB0_15
; %bb.14:
	v_add_f64 v[104:105], v[66:67], v[14:15]
	v_add_f64 v[4:5], v[64:65], -v[4:5]
	v_add_f64 v[20:21], v[56:57], -v[20:21]
	v_add_f64 v[16:17], v[60:61], -v[16:17]
	v_add_f64 v[60:61], v[22:23], v[58:59]
	v_add_f64 v[24:25], v[52:53], -v[24:25]
	v_add_f64 v[52:53], v[30:31], v[50:51]
	v_add_f64 v[28:29], v[48:49], -v[28:29]
	;; [unrolled: 2-line block ×3, first 2 shown]
	v_add_f64 v[40:41], v[46:47], v[34:35]
	s_mov_b32 s24, 0x5d8e7cdc
	s_mov_b32 s42, 0x2a9d6da3
	s_mov_b32 s44, 0x7c9e640b
	s_mov_b32 s28, 0xeb564b22
	s_mov_b32 s18, 0x923c349f
	s_mov_b32 s25, 0xbfd71e95
	s_mov_b32 s43, 0xbfe58eea
	s_mov_b32 s45, 0xbfeca52d
	s_mov_b32 s29, 0xbfefdd0d
	s_mov_b32 s19, 0xbfeec746
	s_mov_b32 s22, 0x6c9a05f6
	v_add_f64 v[64:65], v[62:63], v[104:105]
	s_mov_b32 s26, 0x4363dd80
	s_mov_b32 s23, 0xbfe9895b
	s_mov_b32 s27, 0xbfe0d888
	v_add_f64 v[66:67], v[6:7], v[66:67]
	s_mov_b32 s30, 0xacd6c6b4
	v_add_f64 v[32:33], v[32:33], -v[44:45]
	v_mul_f64 v[44:45], v[4:5], s[24:25]
	v_mul_f64 v[104:105], v[4:5], s[28:29]
	;; [unrolled: 1-line block ×3, first 2 shown]
	s_mov_b32 s31, 0xbfc7851a
	v_mul_f64 v[108:109], v[4:5], s[22:23]
	v_mul_f64 v[110:111], v[4:5], s[26:27]
	s_mov_b32 s0, 0x370991
	s_mov_b32 s4, 0x75d4884
	;; [unrolled: 1-line block ×9, first 2 shown]
	v_add_f64 v[56:57], v[58:59], v[64:65]
	v_add_f64 v[58:59], v[26:27], v[54:55]
	v_mul_f64 v[64:65], v[4:5], s[44:45]
	s_mov_b32 s13, 0xbfd183b1
	s_mov_b32 s14, 0x6ed5f1bb
	;; [unrolled: 1-line block ×12, first 2 shown]
	v_add_f64 v[62:63], v[18:19], v[62:63]
	v_mul_f64 v[112:113], v[16:17], s[42:43]
	v_mul_f64 v[114:115], v[16:17], s[28:29]
	;; [unrolled: 1-line block ×5, first 2 shown]
	v_fma_f64 v[182:183], v[66:67], s[0:1], -v[44:45]
	v_add_f64 v[54:55], v[54:55], v[56:57]
	v_mul_f64 v[56:57], v[4:5], s[42:43]
	v_mul_f64 v[4:5], v[4:5], s[30:31]
	v_fma_f64 v[44:45], v[66:67], s[0:1], v[44:45]
	v_fma_f64 v[186:187], v[66:67], s[6:7], -v[64:65]
	v_fma_f64 v[64:65], v[66:67], s[6:7], v[64:65]
	v_fma_f64 v[188:189], v[66:67], s[10:11], -v[104:105]
	v_fma_f64 v[104:105], v[66:67], s[10:11], v[104:105]
	v_fma_f64 v[190:191], v[66:67], s[12:13], -v[106:107]
	s_mov_b32 s21, 0xbfef7484
	s_mov_b32 s37, 0x3fd71e95
	;; [unrolled: 1-line block ×3, first 2 shown]
	v_mul_f64 v[122:123], v[16:17], s[50:51]
	v_mul_f64 v[124:125], v[16:17], s[34:35]
	v_fma_f64 v[192:193], v[66:67], s[14:15], -v[108:109]
	v_fma_f64 v[108:109], v[66:67], s[14:15], v[108:109]
	v_fma_f64 v[194:195], v[66:67], s[16:17], -v[110:111]
	v_fma_f64 v[110:111], v[66:67], s[16:17], v[110:111]
	v_mul_f64 v[16:17], v[16:17], s[36:37]
	s_mov_b32 s53, 0x3fc7851a
	s_mov_b32 s39, 0x3fe58eea
	;; [unrolled: 1-line block ×3, first 2 shown]
	v_add_f64 v[50:51], v[50:51], v[54:55]
	v_fma_f64 v[184:185], v[66:67], s[4:5], -v[56:57]
	v_fma_f64 v[56:57], v[66:67], s[4:5], v[56:57]
	s_mov_b32 s38, s42
	v_mul_f64 v[126:127], v[20:21], s[44:45]
	v_mul_f64 v[128:129], v[20:21], s[22:23]
	;; [unrolled: 1-line block ×6, first 2 shown]
	v_fma_f64 v[106:107], v[66:67], s[12:13], v[106:107]
	v_fma_f64 v[196:197], v[62:63], s[10:11], -v[114:115]
	v_fma_f64 v[114:115], v[62:63], s[10:11], v[114:115]
	v_fma_f64 v[198:199], v[62:63], s[14:15], -v[116:117]
	;; [unrolled: 2-line block ×4, first 2 shown]
	v_add_f64 v[182:183], v[14:15], v[182:183]
	v_add_f64 v[44:45], v[14:15], v[44:45]
	;; [unrolled: 1-line block ×9, first 2 shown]
	v_mul_f64 v[54:55], v[20:21], s[28:29]
	v_fma_f64 v[204:205], v[62:63], s[12:13], -v[122:123]
	v_fma_f64 v[122:123], v[62:63], s[12:13], v[122:123]
	v_fma_f64 v[206:207], v[62:63], s[6:7], -v[124:125]
	v_add_f64 v[108:109], v[14:15], v[108:109]
	v_add_f64 v[194:195], v[14:15], v[194:195]
	v_fma_f64 v[124:125], v[62:63], s[6:7], v[124:125]
	v_add_f64 v[110:111], v[14:15], v[110:111]
	v_mul_f64 v[136:137], v[20:21], s[24:25]
	v_mul_f64 v[20:21], v[20:21], s[26:27]
	v_fma_f64 v[208:209], v[62:63], s[0:1], -v[16:17]
	v_fma_f64 v[16:17], v[62:63], s[0:1], v[16:17]
	s_mov_b32 s47, 0x3fe9895b
	s_mov_b32 s46, s22
	;; [unrolled: 1-line block ×4, first 2 shown]
	v_mul_f64 v[138:139], v[24:25], s[28:29]
	v_add_f64 v[34:35], v[34:35], v[42:43]
	v_fma_f64 v[42:43], v[66:67], s[20:21], -v[4:5]
	v_fma_f64 v[4:5], v[66:67], s[20:21], v[4:5]
	v_fma_f64 v[66:67], v[62:63], s[4:5], -v[112:113]
	v_fma_f64 v[112:113], v[62:63], s[4:5], v[112:113]
	v_mul_f64 v[140:141], v[24:25], s[30:31]
	v_mul_f64 v[142:143], v[24:25], s[50:51]
	;; [unrolled: 1-line block ×4, first 2 shown]
	v_fma_f64 v[120:121], v[62:63], s[16:17], v[120:121]
	v_fma_f64 v[62:63], v[60:61], s[6:7], -v[126:127]
	v_fma_f64 v[126:127], v[60:61], s[6:7], v[126:127]
	v_fma_f64 v[210:211], v[60:61], s[14:15], -v[128:129]
	v_fma_f64 v[128:129], v[60:61], s[14:15], v[128:129]
	v_fma_f64 v[212:213], v[60:61], s[20:21], -v[130:131]
	v_fma_f64 v[130:131], v[60:61], s[20:21], v[130:131]
	v_fma_f64 v[214:215], v[60:61], s[12:13], -v[132:133]
	v_fma_f64 v[132:133], v[60:61], s[12:13], v[132:133]
	v_fma_f64 v[216:217], v[60:61], s[4:5], -v[134:135]
	v_add_f64 v[188:189], v[14:15], v[188:189]
	v_fma_f64 v[246:247], v[52:53], s[0:1], -v[164:165]
	v_add_f64 v[106:107], v[14:15], v[106:107]
	v_add_f64 v[34:35], v[2:3], v[34:35]
	v_add_f64 v[192:193], v[14:15], v[192:193]
	v_add_f64 v[4:5], v[14:15], v[4:5]
	v_add_f64 v[42:43], v[14:15], v[42:43]
	v_add_f64 v[14:15], v[66:67], v[182:183]
	v_add_f64 v[44:45], v[112:113], v[44:45]
	v_add_f64 v[66:67], v[196:197], v[184:185]
	v_add_f64 v[56:57], v[114:115], v[56:57]
	v_add_f64 v[112:113], v[198:199], v[186:187]
	v_add_f64 v[64:65], v[116:117], v[64:65]
	v_add_f64 v[104:105], v[118:119], v[104:105]
	v_mul_f64 v[150:151], v[24:25], s[46:47]
	v_fma_f64 v[220:221], v[60:61], s[10:11], -v[54:55]
	v_add_f64 v[108:109], v[122:123], v[108:109]
	v_add_f64 v[122:123], v[206:207], v[194:195]
	v_mul_f64 v[148:149], v[24:25], s[26:27]
	v_mul_f64 v[24:25], v[24:25], s[38:39]
	;; [unrolled: 1-line block ×7, first 2 shown]
	v_add_f64 v[34:35], v[10:11], v[34:35]
	v_mul_f64 v[162:163], v[28:29], s[40:41]
	v_mul_f64 v[28:29], v[28:29], s[22:23]
	v_fma_f64 v[54:55], v[60:61], s[10:11], v[54:55]
	v_add_f64 v[110:111], v[124:125], v[110:111]
	v_fma_f64 v[222:223], v[60:61], s[16:17], -v[20:21]
	v_fma_f64 v[20:21], v[60:61], s[16:17], v[20:21]
	v_add_f64 v[4:5], v[16:17], v[4:5]
	v_fma_f64 v[134:135], v[60:61], s[4:5], v[134:135]
	v_fma_f64 v[218:219], v[60:61], s[0:1], -v[136:137]
	v_fma_f64 v[136:137], v[60:61], s[0:1], v[136:137]
	v_fma_f64 v[60:61], v[58:59], s[10:11], -v[138:139]
	v_fma_f64 v[224:225], v[58:59], s[20:21], -v[140:141]
	v_fma_f64 v[140:141], v[58:59], s[20:21], v[140:141]
	v_fma_f64 v[226:227], v[58:59], s[12:13], -v[142:143]
	v_fma_f64 v[142:143], v[58:59], s[12:13], v[142:143]
	;; [unrolled: 2-line block ×3, first 2 shown]
	v_fma_f64 v[230:231], v[58:59], s[6:7], -v[146:147]
	v_add_f64 v[14:15], v[62:63], v[14:15]
	v_add_f64 v[16:17], v[126:127], v[44:45]
	;; [unrolled: 1-line block ×8, first 2 shown]
	v_fma_f64 v[138:139], v[58:59], s[10:11], v[138:139]
	v_fma_f64 v[234:235], v[58:59], s[14:15], -v[150:151]
	v_add_f64 v[106:107], v[120:121], v[106:107]
	v_add_f64 v[42:43], v[208:209], v[42:43]
	;; [unrolled: 1-line block ×3, first 2 shown]
	v_fma_f64 v[146:147], v[58:59], s[6:7], v[146:147]
	v_fma_f64 v[232:233], v[58:59], s[16:17], -v[148:149]
	v_fma_f64 v[148:149], v[58:59], s[16:17], v[148:149]
	v_fma_f64 v[150:151], v[58:59], s[14:15], v[150:151]
	v_fma_f64 v[236:237], v[58:59], s[4:5], -v[24:25]
	v_fma_f64 v[24:25], v[58:59], s[4:5], v[24:25]
	v_fma_f64 v[58:59], v[52:53], s[12:13], -v[152:153]
	;; [unrolled: 2-line block ×4, first 2 shown]
	v_fma_f64 v[156:157], v[52:53], s[4:5], v[156:157]
	v_add_f64 v[34:35], v[38:39], v[34:35]
	v_fma_f64 v[38:39], v[52:53], s[0:1], v[164:165]
	v_add_f64 v[164:165], v[202:203], v[190:191]
	v_fma_f64 v[242:243], v[52:53], s[6:7], -v[158:159]
	v_fma_f64 v[158:159], v[52:53], s[6:7], v[158:159]
	v_fma_f64 v[46:47], v[52:53], s[20:21], -v[160:161]
	v_fma_f64 v[160:161], v[52:53], s[20:21], v[160:161]
	;; [unrolled: 2-line block ×4, first 2 shown]
	v_add_f64 v[52:53], v[200:201], v[188:189]
	v_add_f64 v[54:55], v[54:55], v[110:111]
	;; [unrolled: 1-line block ×4, first 2 shown]
	v_mul_f64 v[166:167], v[36:37], s[22:23]
	v_mul_f64 v[168:169], v[36:37], s[50:51]
	;; [unrolled: 1-line block ×7, first 2 shown]
	v_add_f64 v[30:31], v[30:31], v[34:35]
	v_mul_f64 v[36:37], v[36:37], s[34:35]
	v_add_f64 v[128:129], v[216:217], v[164:165]
	v_add_f64 v[108:109], v[136:137], v[108:109]
	;; [unrolled: 1-line block ×16, first 2 shown]
	v_fma_f64 v[116:117], v[48:49], s[14:15], -v[166:167]
	v_fma_f64 v[118:119], v[48:49], s[14:15], v[166:167]
	v_fma_f64 v[34:35], v[48:49], s[12:13], -v[168:169]
	v_fma_f64 v[66:67], v[48:49], s[12:13], v[168:169]
	v_add_f64 v[26:27], v[26:27], v[30:31]
	v_fma_f64 v[112:113], v[48:49], s[0:1], -v[170:171]
	v_add_f64 v[128:129], v[230:231], v[128:129]
	v_fma_f64 v[124:125], v[48:49], s[0:1], v[170:171]
	v_fma_f64 v[126:127], v[48:49], s[16:17], -v[50:51]
	v_fma_f64 v[30:31], v[48:49], s[16:17], v[50:51]
	v_fma_f64 v[50:51], v[48:49], s[10:11], -v[172:173]
	v_fma_f64 v[62:63], v[48:49], s[10:11], v[172:173]
	v_fma_f64 v[64:65], v[48:49], s[4:5], -v[174:175]
	v_fma_f64 v[110:111], v[48:49], s[4:5], v[174:175]
	v_add_f64 v[108:109], v[148:149], v[108:109]
	v_add_f64 v[14:15], v[58:59], v[14:15]
	;; [unrolled: 1-line block ×4, first 2 shown]
	v_fma_f64 v[56:57], v[48:49], s[20:21], v[176:177]
	v_add_f64 v[58:59], v[156:157], v[60:61]
	v_fma_f64 v[60:61], v[48:49], s[6:7], -v[36:37]
	v_fma_f64 v[36:37], v[48:49], s[6:7], v[36:37]
	v_mul_f64 v[178:179], v[32:33], s[26:27]
	v_mul_f64 v[180:181], v[32:33], s[34:35]
	v_add_f64 v[106:107], v[146:147], v[106:107]
	v_add_f64 v[42:43], v[236:237], v[42:43]
	;; [unrolled: 1-line block ×3, first 2 shown]
	v_fma_f64 v[26:27], v[48:49], s[20:21], -v[176:177]
	v_add_f64 v[48:49], v[158:159], v[104:105]
	v_add_f64 v[46:47], v[46:47], v[128:129]
	;; [unrolled: 1-line block ×10, first 2 shown]
	v_mul_f64 v[54:55], v[32:33], s[46:47]
	v_add_f64 v[28:29], v[112:113], v[44:45]
	v_add_f64 v[0:1], v[0:1], -v[8:9]
	v_add_f64 v[44:45], v[124:125], v[58:59]
	v_mul_f64 v[58:59], v[32:33], s[24:25]
	v_add_f64 v[14:15], v[116:117], v[14:15]
	v_fma_f64 v[104:105], v[40:41], s[16:17], -v[178:179]
	v_add_f64 v[24:25], v[66:67], v[24:25]
	v_add_f64 v[106:107], v[160:161], v[106:107]
	;; [unrolled: 1-line block ×4, first 2 shown]
	v_mul_f64 v[22:23], v[32:33], s[28:29]
	v_add_f64 v[30:31], v[30:31], v[48:49]
	v_mul_f64 v[48:49], v[32:33], s[30:31]
	v_add_f64 v[46:47], v[50:51], v[46:47]
	v_mul_f64 v[50:51], v[32:33], s[38:39]
	v_mul_f64 v[32:33], v[32:33], s[18:19]
	v_add_f64 v[16:17], v[118:119], v[16:17]
	v_add_f64 v[20:21], v[34:35], v[20:21]
	v_fma_f64 v[34:35], v[40:41], s[16:17], v[178:179]
	v_add_f64 v[8:9], v[26:27], v[122:123]
	v_fma_f64 v[26:27], v[40:41], s[6:7], -v[180:181]
	v_add_f64 v[52:53], v[242:243], v[52:53]
	v_add_f64 v[38:39], v[56:57], v[38:39]
	v_fma_f64 v[56:57], v[40:41], s[6:7], v[180:181]
	v_add_f64 v[120:121], v[244:245], v[120:121]
	v_add_f64 v[4:5], v[36:37], v[4:5]
	v_add_f64 v[66:67], v[110:111], v[108:109]
	v_add_f64 v[2:3], v[10:11], v[2:3]
	v_mul_f64 v[10:11], v[0:1], s[30:31]
	v_add_f64 v[62:63], v[62:63], v[106:107]
	v_add_f64 v[42:43], v[60:61], v[42:43]
	;; [unrolled: 1-line block ×3, first 2 shown]
	v_fma_f64 v[36:37], v[40:41], s[10:11], -v[22:23]
	v_fma_f64 v[22:23], v[40:41], s[10:11], v[22:23]
	v_fma_f64 v[60:61], v[40:41], s[0:1], -v[58:59]
	v_fma_f64 v[58:59], v[40:41], s[0:1], v[58:59]
	v_fma_f64 v[104:105], v[40:41], s[20:21], -v[48:49]
	v_fma_f64 v[108:109], v[40:41], s[12:13], -v[32:33]
	v_fma_f64 v[32:33], v[40:41], s[12:13], v[32:33]
	v_fma_f64 v[48:49], v[40:41], s[20:21], v[48:49]
	v_add_f64 v[16:17], v[34:35], v[16:17]
	v_fma_f64 v[34:35], v[40:41], s[14:15], -v[54:55]
	v_fma_f64 v[54:55], v[40:41], s[14:15], v[54:55]
	v_fma_f64 v[106:107], v[40:41], s[4:5], -v[50:51]
	v_fma_f64 v[50:51], v[40:41], s[4:5], v[50:51]
	v_mul_f64 v[40:41], v[0:1], s[36:37]
	v_add_f64 v[20:21], v[26:27], v[20:21]
	v_mul_f64 v[26:27], v[0:1], s[26:27]
	v_add_f64 v[52:53], v[126:127], v[52:53]
	;; [unrolled: 2-line block ×5, first 2 shown]
	v_mul_f64 v[36:37], v[0:1], s[18:19]
	v_mul_f64 v[0:1], v[0:1], s[40:41]
	v_add_f64 v[22:23], v[22:23], v[44:45]
	v_add_f64 v[44:45], v[60:61], v[46:47]
	;; [unrolled: 1-line block ×4, first 2 shown]
	v_fma_f64 v[32:33], v[2:3], s[20:21], -v[10:11]
	v_add_f64 v[42:43], v[108:109], v[42:43]
	v_add_f64 v[48:49], v[48:49], v[66:67]
	;; [unrolled: 1-line block ×5, first 2 shown]
	v_fma_f64 v[50:51], v[2:3], s[0:1], -v[40:41]
	v_fma_f64 v[40:41], v[2:3], s[0:1], v[40:41]
	v_fma_f64 v[54:55], v[2:3], s[16:17], -v[26:27]
	v_add_f64 v[34:35], v[34:35], v[52:53]
	v_fma_f64 v[58:59], v[2:3], s[4:5], -v[110:111]
	v_fma_f64 v[60:61], v[2:3], s[4:5], v[110:111]
	v_fma_f64 v[62:63], v[2:3], s[14:15], -v[56:57]
	v_add_f64 v[52:53], v[104:105], v[64:65]
	v_fma_f64 v[64:65], v[2:3], s[6:7], -v[112:113]
	v_fma_f64 v[66:67], v[2:3], s[6:7], v[112:113]
	v_fma_f64 v[104:105], v[2:3], s[12:13], -v[36:37]
	v_fma_f64 v[106:107], v[2:3], s[10:11], -v[0:1]
	v_fma_f64 v[0:1], v[2:3], s[10:11], v[0:1]
	v_fma_f64 v[36:37], v[2:3], s[12:13], v[36:37]
	;; [unrolled: 1-line block ×5, first 2 shown]
	v_add_f64 v[6:7], v[6:7], v[18:19]
	v_add_f64 v[10:11], v[32:33], v[14:15]
	;; [unrolled: 1-line block ×17, first 2 shown]
	v_lshl_add_u32 v16, v96, 7, v100
	ds_write2_b64 v16, v[6:7], v[10:11] offset1:1
	ds_write2_b64 v16, v[14:15], v[20:21] offset0:2 offset1:3
	ds_write2_b64 v16, v[24:25], v[30:31] offset0:4 offset1:5
	;; [unrolled: 1-line block ×7, first 2 shown]
	ds_write_b64 v16, v[2:3] offset:128
.LBB0_15:
	s_or_b32 exec_lo, exec_lo, s33
	v_add_nc_u32_e32 v28, 0x77, v96
	v_and_b32_e32 v1, 0xff, v96
	v_add_nc_u32_e32 v0, 0xee, v96
	v_add_nc_u32_e32 v9, 0x165, v96
	;; [unrolled: 1-line block ×3, first 2 shown]
	v_and_b32_e32 v2, 0xff, v28
	v_mul_lo_u16 v67, 0xf1, v1
	v_mov_b32_e32 v1, 0xf0f1
	v_add_nc_u32_e32 v11, 0x253, v96
	v_add_nc_u32_e32 v14, 0x2ca, v96
	v_mul_lo_u16 v112, 0xf1, v2
	v_lshrrev_b16 v113, 12, v67
	v_mul_u32_u24_sdwa v2, v0, v1 dst_sel:DWORD dst_unused:UNUSED_PAD src0_sel:WORD_0 src1_sel:DWORD
	v_mul_u32_u24_sdwa v3, v9, v1 dst_sel:DWORD dst_unused:UNUSED_PAD src0_sel:WORD_0 src1_sel:DWORD
	;; [unrolled: 1-line block ×3, first 2 shown]
	v_lshrrev_b16 v114, 12, v112
	v_mul_u32_u24_sdwa v7, v11, v1 dst_sel:DWORD dst_unused:UNUSED_PAD src0_sel:WORD_0 src1_sel:DWORD
	v_mul_u32_u24_sdwa v1, v14, v1 dst_sel:DWORD dst_unused:UNUSED_PAD src0_sel:WORD_0 src1_sel:DWORD
	v_mul_lo_u16 v4, v113, 17
	v_lshrrev_b32_e32 v117, 20, v2
	v_mul_lo_u16 v5, v114, 17
	v_lshrrev_b32_e32 v118, 20, v3
	v_lshrrev_b32_e32 v119, 20, v6
	;; [unrolled: 1-line block ×4, first 2 shown]
	v_mov_b32_e32 v15, 4
	v_sub_nc_u16 v115, v96, v4
	v_mul_lo_u16 v16, v117, 17
	v_sub_nc_u16 v116, v28, v5
	v_mul_lo_u16 v17, v118, 17
	v_mul_lo_u16 v18, v119, 17
	;; [unrolled: 1-line block ×4, first 2 shown]
	v_lshlrev_b32_sdwa v2, v15, v115 dst_sel:DWORD dst_unused:UNUSED_PAD src0_sel:DWORD src1_sel:BYTE_0
	v_sub_nc_u16 v122, v0, v16
	v_lshlrev_b32_sdwa v5, v15, v116 dst_sel:DWORD dst_unused:UNUSED_PAD src0_sel:DWORD src1_sel:BYTE_0
	v_sub_nc_u16 v123, v9, v17
	v_sub_nc_u16 v124, v10, v18
	;; [unrolled: 1-line block ×4, first 2 shown]
	s_waitcnt lgkmcnt(0)
	s_barrier
	buffer_gl0_inv
	s_clause 0x1
	global_load_dwordx4 v[1:4], v2, s[8:9]
	global_load_dwordx4 v[5:8], v5, s[8:9]
	v_lshlrev_b32_sdwa v0, v15, v122 dst_sel:DWORD dst_unused:UNUSED_PAD src0_sel:DWORD src1_sel:WORD_0
	v_lshlrev_b32_sdwa v9, v15, v123 dst_sel:DWORD dst_unused:UNUSED_PAD src0_sel:DWORD src1_sel:WORD_0
	;; [unrolled: 1-line block ×5, first 2 shown]
	s_clause 0x4
	global_load_dwordx4 v[14:17], v0, s[8:9]
	global_load_dwordx4 v[18:21], v9, s[8:9]
	;; [unrolled: 1-line block ×5, first 2 shown]
	ds_read2_b64 v[37:40], v12 offset0:74 offset1:193
	ds_read2_b64 v[41:44], v13 offset0:56 offset1:175
	;; [unrolled: 1-line block ×4, first 2 shown]
	ds_read2_b64 v[53:56], v100 offset1:119
	ds_read2_b64 v[57:60], v101 offset0:110 offset1:229
	ds_read2_b64 v[61:64], v103 offset0:92 offset1:211
	v_mov_b32_e32 v126, 0x110
	v_lshrrev_b16 v128, 13, v67
	v_mov_b32_e32 v0, 3
	v_lshrrev_b16 v129, 13, v112
	v_mov_b32_e32 v127, 6
	v_mul_u32_u24_sdwa v67, v113, v126 dst_sel:DWORD dst_unused:UNUSED_PAD src0_sel:WORD_0 src1_sel:DWORD
	v_mul_u32_u24_e32 v113, 0x110, v117
	v_mul_u32_u24_e32 v117, 0x110, v118
	;; [unrolled: 1-line block ×4, first 2 shown]
	v_mul_lo_u16 v120, v128, 34
	v_lshlrev_b32_sdwa v11, v0, v11 dst_sel:DWORD dst_unused:UNUSED_PAD src0_sel:DWORD src1_sel:WORD_0
	s_waitcnt vmcnt(0) lgkmcnt(0)
	s_barrier
	buffer_gl0_inv
	s_mov_b32 s10, 0x37e14327
	v_add3_u32 v11, 0, v119, v11
	s_mov_b32 s0, 0x36b3c0b5
	s_mov_b32 s14, 0xe976ee23
	;; [unrolled: 1-line block ×19, first 2 shown]
	v_mul_f64 v[9:10], v[39:40], v[3:4]
	v_mul_f64 v[26:27], v[41:42], v[7:8]
	;; [unrolled: 1-line block ×14, first 2 shown]
	v_fma_f64 v[9:10], v[74:75], v[1:2], v[9:10]
	v_fma_f64 v[26:27], v[84:85], v[5:6], v[26:27]
	v_fma_f64 v[1:2], v[39:40], v[1:2], -v[3:4]
	v_fma_f64 v[65:66], v[86:87], v[14:15], v[65:66]
	v_fma_f64 v[74:75], v[88:89], v[18:19], v[104:105]
	v_fma_f64 v[5:6], v[41:42], v[5:6], -v[7:8]
	v_fma_f64 v[84:85], v[90:91], v[22:23], v[106:107]
	v_fma_f64 v[3:4], v[43:44], v[14:15], -v[16:17]
	;; [unrolled: 2-line block ×4, first 2 shown]
	v_fma_f64 v[18:19], v[49:50], v[29:30], -v[31:32]
	v_fma_f64 v[20:21], v[51:52], v[33:34], -v[35:36]
	v_sub_nc_u16 v93, v96, v120
	v_mul_lo_u16 v92, v129, 34
	v_lshlrev_b32_sdwa v94, v0, v115 dst_sel:DWORD dst_unused:UNUSED_PAD src0_sel:DWORD src1_sel:BYTE_0
	v_mul_u32_u24_sdwa v91, v114, v126 dst_sel:DWORD dst_unused:UNUSED_PAD src0_sel:WORD_0 src1_sel:DWORD
	v_lshlrev_b32_sdwa v35, v0, v116 dst_sel:DWORD dst_unused:UNUSED_PAD src0_sel:DWORD src1_sel:BYTE_0
	v_lshlrev_b32_sdwa v95, v0, v122 dst_sel:DWORD dst_unused:UNUSED_PAD src0_sel:DWORD src1_sel:WORD_0
	v_mul_u32_u24_sdwa v34, v93, v127 dst_sel:DWORD dst_unused:UNUSED_PAD src0_sel:BYTE_0 src1_sel:DWORD
	v_lshlrev_b32_sdwa v104, v0, v123 dst_sel:DWORD dst_unused:UNUSED_PAD src0_sel:DWORD src1_sel:WORD_0
	v_add_f64 v[7:8], v[68:69], -v[9:10]
	v_add_f64 v[9:10], v[70:71], -v[26:27]
	;; [unrolled: 1-line block ×14, first 2 shown]
	v_lshlrev_b32_sdwa v105, v0, v124 dst_sel:DWORD dst_unused:UNUSED_PAD src0_sel:DWORD src1_sel:WORD_0
	v_mul_u32_u24_e32 v90, 0x110, v121
	v_lshlrev_b32_sdwa v33, v0, v125 dst_sel:DWORD dst_unused:UNUSED_PAD src0_sel:DWORD src1_sel:WORD_0
	v_sub_nc_u16 v120, v28, v92
	v_add3_u32 v65, 0, v67, v94
	v_add3_u32 v66, 0, v113, v95
	;; [unrolled: 1-line block ×3, first 2 shown]
	v_fma_f64 v[1:2], v[68:69], 2.0, -v[7:8]
	v_fma_f64 v[3:4], v[70:71], 2.0, -v[9:10]
	;; [unrolled: 1-line block ×14, first 2 shown]
	v_add3_u32 v71, 0, v91, v35
	v_lshlrev_b32_e32 v70, 4, v34
	v_add3_u32 v68, 0, v118, v105
	v_add3_u32 v69, 0, v90, v33
	ds_write2_b64 v65, v[1:2], v[7:8] offset1:17
	ds_write2_b64 v71, v[3:4], v[9:10] offset1:17
	;; [unrolled: 1-line block ×7, first 2 shown]
	v_mul_u32_u24_sdwa v9, v120, v127 dst_sel:DWORD dst_unused:UNUSED_PAD src0_sel:BYTE_0 src1_sel:DWORD
	s_waitcnt lgkmcnt(0)
	s_barrier
	buffer_gl0_inv
	ds_read2_b64 v[1:4], v100 offset1:119
	ds_read2_b64 v[5:8], v101 offset0:110 offset1:229
	ds_read2_b64 v[14:17], v103 offset0:92 offset1:211
	;; [unrolled: 1-line block ×6, first 2 shown]
	s_waitcnt lgkmcnt(0)
	s_barrier
	buffer_gl0_inv
	ds_write2_b64 v65, v[53:54], v[39:40] offset1:17
	ds_write2_b64 v71, v[55:56], v[51:52] offset1:17
	;; [unrolled: 1-line block ×7, first 2 shown]
	s_waitcnt lgkmcnt(0)
	s_barrier
	buffer_gl0_inv
	s_clause 0x3
	global_load_dwordx4 v[37:40], v70, s[8:9] offset:272
	global_load_dwordx4 v[41:44], v70, s[8:9] offset:288
	global_load_dwordx4 v[45:48], v70, s[8:9] offset:304
	global_load_dwordx4 v[49:52], v70, s[8:9] offset:352
	v_lshlrev_b32_e32 v9, 4, v9
	s_clause 0x7
	global_load_dwordx4 v[53:56], v70, s[8:9] offset:336
	global_load_dwordx4 v[57:60], v70, s[8:9] offset:320
	;; [unrolled: 1-line block ×8, first 2 shown]
	ds_read2_b64 v[85:88], v101 offset0:110 offset1:229
	ds_read2_b64 v[89:92], v103 offset0:92 offset1:211
	ds_read2_b64 v[104:107], v12 offset0:74 offset1:193
	ds_read2_b64 v[108:111], v102 offset0:20 offset1:139
	ds_read2_b64 v[112:115], v97 offset0:38 offset1:157
	ds_read2_b64 v[116:119], v13 offset0:56 offset1:175
	v_mov_b32_e32 v9, 0x770
	v_lshlrev_b32_sdwa v11, v0, v93 dst_sel:DWORD dst_unused:UNUSED_PAD src0_sel:DWORD src1_sel:BYTE_0
	v_lshlrev_b32_sdwa v0, v0, v120 dst_sel:DWORD dst_unused:UNUSED_PAD src0_sel:DWORD src1_sel:BYTE_0
	v_mul_u32_u24_sdwa v10, v128, v9 dst_sel:DWORD dst_unused:UNUSED_PAD src0_sel:WORD_0 src1_sel:DWORD
	v_mul_u32_u24_sdwa v95, v129, v9 dst_sel:DWORD dst_unused:UNUSED_PAD src0_sel:WORD_0 src1_sel:DWORD
	v_add3_u32 v138, 0, v10, v11
	v_add3_u32 v95, 0, v95, v0
	s_waitcnt vmcnt(7) lgkmcnt(1)
	v_mul_f64 v[122:123], v[112:113], v[55:56]
	v_mul_f64 v[9:10], v[85:86], v[39:40]
	;; [unrolled: 1-line block ×9, first 2 shown]
	s_waitcnt vmcnt(6) lgkmcnt(0)
	v_mul_f64 v[124:125], v[116:117], v[59:60]
	s_waitcnt vmcnt(5)
	v_mul_f64 v[126:127], v[87:88], v[63:64]
	s_waitcnt vmcnt(4)
	;; [unrolled: 2-line block ×4, first 2 shown]
	v_mul_f64 v[132:133], v[114:115], v[75:76]
	v_mul_f64 v[51:52], v[33:34], v[51:52]
	;; [unrolled: 1-line block ×7, first 2 shown]
	s_waitcnt vmcnt(1)
	v_mul_f64 v[134:135], v[106:107], v[79:80]
	v_mul_f64 v[79:80], v[20:21], v[79:80]
	v_fma_f64 v[29:30], v[29:30], v[53:54], v[122:123]
	v_fma_f64 v[9:10], v[5:6], v[37:38], v[9:10]
	s_waitcnt vmcnt(0)
	v_mul_f64 v[136:137], v[118:119], v[83:84]
	v_fma_f64 v[14:15], v[14:15], v[41:42], v[39:40]
	v_fma_f64 v[33:34], v[33:34], v[49:50], v[120:121]
	v_mul_f64 v[83:84], v[24:25], v[83:84]
	v_fma_f64 v[26:27], v[85:86], v[37:38], -v[26:27]
	v_fma_f64 v[37:38], v[89:90], v[41:42], -v[43:44]
	;; [unrolled: 1-line block ×3, first 2 shown]
	v_fma_f64 v[18:19], v[18:19], v[45:46], v[93:94]
	v_fma_f64 v[43:44], v[104:105], v[45:46], -v[47:48]
	v_fma_f64 v[22:23], v[22:23], v[57:58], v[124:125]
	v_fma_f64 v[47:48], v[7:8], v[61:62], v[126:127]
	;; [unrolled: 1-line block ×5, first 2 shown]
	v_fma_f64 v[39:40], v[108:109], v[49:50], -v[51:52]
	v_fma_f64 v[45:46], v[116:117], v[57:58], -v[59:60]
	;; [unrolled: 1-line block ×6, first 2 shown]
	v_fma_f64 v[20:21], v[20:21], v[77:78], v[134:135]
	v_fma_f64 v[57:58], v[106:107], v[77:78], -v[79:80]
	v_fma_f64 v[24:25], v[24:25], v[81:82], v[136:137]
	v_add_f64 v[65:66], v[14:15], v[29:30]
	v_add_f64 v[61:62], v[9:10], v[33:34]
	v_fma_f64 v[59:60], v[118:119], v[81:82], -v[83:84]
	v_add_f64 v[14:15], v[14:15], -v[29:30]
	v_add_f64 v[9:10], v[9:10], -v[33:34]
	v_add_f64 v[67:68], v[37:38], v[41:42]
	v_add_f64 v[37:38], v[37:38], -v[41:42]
	ds_read2_b64 v[5:8], v100 offset1:119
	v_add_f64 v[29:30], v[18:19], v[22:23]
	v_add_f64 v[18:19], v[22:23], -v[18:19]
	s_waitcnt lgkmcnt(0)
	v_add_f64 v[22:23], v[47:48], v[35:36]
	v_add_f64 v[41:42], v[16:17], v[31:32]
	;; [unrolled: 1-line block ×4, first 2 shown]
	v_add_f64 v[43:44], v[45:46], -v[43:44]
	v_add_f64 v[26:27], v[26:27], -v[39:40]
	v_add_f64 v[39:40], v[49:50], v[51:52]
	v_add_f64 v[35:36], v[47:48], -v[35:36]
	v_add_f64 v[47:48], v[53:54], v[55:56]
	v_add_f64 v[16:17], v[16:17], -v[31:32]
	v_add_f64 v[31:32], v[53:54], -v[55:56]
	;; [unrolled: 1-line block ×3, first 2 shown]
	v_add_f64 v[53:54], v[65:66], v[61:62]
	v_add_f64 v[49:50], v[20:21], v[24:25]
	v_add_f64 v[20:21], v[24:25], -v[20:21]
	v_add_f64 v[24:25], v[59:60], -v[57:58]
	v_add_f64 v[51:52], v[57:58], v[59:60]
	v_add_f64 v[57:58], v[65:66], -v[61:62]
	s_barrier
	v_add_f64 v[61:62], v[61:62], -v[29:30]
	v_add_f64 v[65:66], v[29:30], -v[65:66]
	v_add_f64 v[69:70], v[18:19], v[14:15]
	v_add_f64 v[75:76], v[18:19], -v[14:15]
	v_add_f64 v[71:72], v[41:42], v[22:23]
	v_add_f64 v[55:56], v[67:68], v[63:64]
	v_add_f64 v[59:60], v[67:68], -v[63:64]
	v_add_f64 v[63:64], v[63:64], -v[33:34]
	;; [unrolled: 1-line block ×3, first 2 shown]
	v_add_f64 v[73:74], v[43:44], v[37:38]
	v_add_f64 v[77:78], v[43:44], -v[37:38]
	v_add_f64 v[79:80], v[47:48], v[39:40]
	v_add_f64 v[37:38], v[37:38], -v[26:27]
	v_add_f64 v[81:82], v[41:42], -v[22:23]
	;; [unrolled: 1-line block ×3, first 2 shown]
	v_add_f64 v[29:30], v[29:30], v[53:54]
	v_add_f64 v[22:23], v[22:23], -v[49:50]
	v_add_f64 v[41:42], v[49:50], -v[41:42]
	v_add_f64 v[53:54], v[24:25], v[31:32]
	v_add_f64 v[89:90], v[24:25], -v[31:32]
	v_add_f64 v[85:86], v[20:21], v[16:17]
	v_add_f64 v[31:32], v[31:32], -v[45:46]
	v_add_f64 v[43:44], v[26:27], -v[43:44]
	;; [unrolled: 1-line block ×5, first 2 shown]
	v_add_f64 v[49:50], v[49:50], v[71:72]
	v_add_f64 v[47:48], v[51:52], -v[47:48]
	v_add_f64 v[87:88], v[20:21], -v[16:17]
	;; [unrolled: 1-line block ×3, first 2 shown]
	v_add_f64 v[33:34], v[33:34], v[55:56]
	v_add_f64 v[9:10], v[69:70], v[9:10]
	;; [unrolled: 1-line block ×3, first 2 shown]
	v_mul_f64 v[55:56], v[61:62], s[10:11]
	v_mul_f64 v[61:62], v[63:64], s[10:11]
	;; [unrolled: 1-line block ×5, first 2 shown]
	v_add_f64 v[51:52], v[51:52], v[79:80]
	v_add_f64 v[0:1], v[1:2], v[29:30]
	v_mul_f64 v[77:78], v[37:38], s[4:5]
	v_add_f64 v[24:25], v[45:46], -v[24:25]
	v_add_f64 v[45:46], v[53:54], v[45:46]
	v_mul_f64 v[22:23], v[22:23], s[10:11]
	v_mul_f64 v[53:54], v[89:90], s[14:15]
	v_add_f64 v[20:21], v[35:36], -v[20:21]
	v_add_f64 v[35:36], v[85:86], v[35:36]
	v_mul_f64 v[79:80], v[31:32], s[4:5]
	v_add_f64 v[2:3], v[3:4], v[49:50]
	v_mul_f64 v[85:86], v[41:42], s[0:1]
	v_mul_f64 v[71:72], v[75:76], s[14:15]
	;; [unrolled: 1-line block ×7, first 2 shown]
	v_add_f64 v[93:94], v[5:6], v[33:34]
	v_fma_f64 v[4:5], v[65:66], s[0:1], v[55:56]
	v_fma_f64 v[65:66], v[67:68], s[0:1], v[61:62]
	v_fma_f64 v[63:64], v[57:58], s[12:13], -v[63:64]
	v_fma_f64 v[67:68], v[59:60], s[12:13], -v[69:70]
	;; [unrolled: 1-line block ×4, first 2 shown]
	v_fma_f64 v[59:60], v[43:44], s[20:21], v[73:74]
	v_add_f64 v[61:62], v[7:8], v[51:52]
	v_fma_f64 v[29:30], v[29:30], s[6:7], v[0:1]
	v_fma_f64 v[6:7], v[37:38], s[4:5], -v[73:74]
	v_fma_f64 v[37:38], v[43:44], s[22:23], -v[77:78]
	v_fma_f64 v[41:42], v[41:42], s[0:1], v[22:23]
	v_fma_f64 v[69:70], v[24:25], s[20:21], v[53:54]
	;; [unrolled: 1-line block ×3, first 2 shown]
	v_fma_f64 v[31:32], v[31:32], s[4:5], -v[53:54]
	v_fma_f64 v[24:25], v[24:25], s[22:23], -v[79:80]
	;; [unrolled: 1-line block ×4, first 2 shown]
	v_fma_f64 v[43:44], v[18:19], s[20:21], v[71:72]
	v_fma_f64 v[14:15], v[14:15], s[4:5], -v[71:72]
	v_fma_f64 v[18:19], v[18:19], s[22:23], -v[75:76]
	v_fma_f64 v[47:48], v[47:48], s[0:1], v[39:40]
	v_fma_f64 v[71:72], v[83:84], s[12:13], -v[89:90]
	v_fma_f64 v[73:74], v[20:21], s[20:21], v[87:88]
	v_fma_f64 v[33:34], v[33:34], s[6:7], v[93:94]
	v_fma_f64 v[39:40], v[83:84], s[16:17], -v[39:40]
	v_fma_f64 v[16:17], v[16:17], s[4:5], -v[87:88]
	;; [unrolled: 1-line block ×3, first 2 shown]
	v_fma_f64 v[59:60], v[26:27], s[18:19], v[59:60]
	v_fma_f64 v[51:52], v[51:52], s[6:7], v[61:62]
	v_add_f64 v[4:5], v[4:5], v[29:30]
	v_fma_f64 v[6:7], v[26:27], s[18:19], v[6:7]
	v_fma_f64 v[26:27], v[26:27], s[18:19], v[37:38]
	v_add_f64 v[37:38], v[55:56], v[29:30]
	v_add_f64 v[29:30], v[63:64], v[29:30]
	v_fma_f64 v[55:56], v[45:46], s[18:19], v[69:70]
	v_add_f64 v[41:42], v[41:42], v[49:50]
	v_fma_f64 v[31:32], v[45:46], s[18:19], v[31:32]
	v_fma_f64 v[24:25], v[45:46], s[18:19], v[24:25]
	v_add_f64 v[22:23], v[22:23], v[49:50]
	v_add_f64 v[45:46], v[53:54], v[49:50]
	v_fma_f64 v[43:44], v[9:10], s[18:19], v[43:44]
	v_fma_f64 v[14:15], v[9:10], s[18:19], v[14:15]
	;; [unrolled: 1-line block ×3, first 2 shown]
	buffer_gl0_inv
	v_fma_f64 v[10:11], v[35:36], s[18:19], v[73:74]
	v_add_f64 v[18:19], v[65:66], v[33:34]
	v_add_f64 v[49:50], v[57:58], v[33:34]
	;; [unrolled: 1-line block ×3, first 2 shown]
	v_fma_f64 v[16:17], v[35:36], s[18:19], v[16:17]
	v_fma_f64 v[20:21], v[35:36], s[18:19], v[20:21]
	v_add_f64 v[35:36], v[47:48], v[51:52]
	v_add_f64 v[47:48], v[71:72], v[51:52]
	;; [unrolled: 1-line block ×5, first 2 shown]
	v_add_f64 v[57:58], v[29:30], -v[6:7]
	v_add_f64 v[6:7], v[6:7], v[29:30]
	v_add_f64 v[26:27], v[37:38], -v[26:27]
	v_add_f64 v[4:5], v[4:5], -v[59:60]
	v_add_f64 v[29:30], v[55:56], v[41:42]
	v_add_f64 v[37:38], v[24:25], v[22:23]
	v_add_f64 v[59:60], v[45:46], -v[31:32]
	v_add_f64 v[31:32], v[31:32], v[45:46]
	v_add_f64 v[22:23], v[22:23], -v[24:25]
	v_add_f64 v[24:25], v[41:42], -v[55:56]
	ds_write2_b64 v138, v[0:1], v[51:52] offset1:34
	ds_write2_b64 v138, v[53:54], v[57:58] offset0:68 offset1:102
	ds_write2_b64 v138, v[6:7], v[26:27] offset0:136 offset1:170
	ds_write_b64 v138, v[4:5] offset:1632
	ds_write2_b64 v95, v[2:3], v[29:30] offset1:34
	ds_write2_b64 v95, v[37:38], v[59:60] offset0:68 offset1:102
	ds_write2_b64 v95, v[31:32], v[22:23] offset0:136 offset1:170
	ds_write_b64 v95, v[24:25] offset:1632
	v_add_f64 v[41:42], v[18:19], -v[43:44]
	v_add_f64 v[45:46], v[49:50], -v[8:9]
	v_add_f64 v[55:56], v[14:15], v[33:34]
	v_add_f64 v[33:34], v[33:34], -v[14:15]
	v_add_f64 v[49:50], v[8:9], v[49:50]
	v_add_f64 v[43:44], v[43:44], v[18:19]
	v_add_f64 v[63:64], v[35:36], -v[10:11]
	v_add_f64 v[65:66], v[39:40], -v[20:21]
	v_add_f64 v[67:68], v[16:17], v[47:48]
	v_add_f64 v[47:48], v[47:48], -v[16:17]
	v_add_f64 v[39:40], v[20:21], v[39:40]
	v_add_f64 v[35:36], v[10:11], v[35:36]
	s_waitcnt lgkmcnt(0)
	s_barrier
	buffer_gl0_inv
	ds_read2_b64 v[0:3], v100 offset1:119
	ds_read2_b64 v[4:7], v101 offset0:110 offset1:229
	ds_read2_b64 v[16:19], v103 offset0:92 offset1:211
	;; [unrolled: 1-line block ×6, first 2 shown]
	s_waitcnt lgkmcnt(0)
	s_barrier
	buffer_gl0_inv
	ds_write2_b64 v138, v[93:94], v[41:42] offset1:34
	ds_write2_b64 v138, v[45:46], v[55:56] offset0:68 offset1:102
	ds_write2_b64 v138, v[33:34], v[49:50] offset0:136 offset1:170
	ds_write_b64 v138, v[43:44] offset:1632
	ds_write2_b64 v95, v[61:62], v[63:64] offset1:34
	ds_write2_b64 v95, v[65:66], v[67:68] offset0:68 offset1:102
	ds_write2_b64 v95, v[47:48], v[39:40] offset0:136 offset1:170
	ds_write_b64 v95, v[35:36] offset:1632
	s_waitcnt lgkmcnt(0)
	s_barrier
	buffer_gl0_inv
	s_and_saveexec_b32 s24, vcc_lo
	s_cbranch_execz .LBB0_17
; %bb.16:
	v_mul_u32_u24_e32 v29, 6, v28
	v_add_nc_u32_e32 v81, 0x1c00, v100
	v_add_nc_u32_e32 v95, 0x2400, v100
	;; [unrolled: 1-line block ×4, first 2 shown]
	v_lshlrev_b32_e32 v29, 4, v29
	v_add_nc_u32_e32 v89, 0xc00, v100
	v_add_nc_u32_e32 v106, 0x2c00, v100
	v_mul_hi_u32 v28, 0x44d72045, v28
	v_mov_b32_e32 v97, 0
	v_add_co_u32 v47, s24, s8, v29
	v_mul_u32_u24_e32 v29, 6, v96
	v_add_co_ci_u32_e64 v48, null, s9, 0, s24
	v_add_co_u32 v45, vcc_lo, 0x800, v47
	v_lshlrev_b32_e32 v51, 4, v29
	v_add_co_ci_u32_e32 v46, vcc_lo, 0, v48, vcc_lo
	v_add_co_u32 v41, vcc_lo, 0xdd0, v47
	v_add_co_u32 v57, s8, s8, v51
	v_add_co_ci_u32_e32 v42, vcc_lo, 0, v48, vcc_lo
	v_add_co_u32 v49, vcc_lo, 0xe10, v47
	v_add_co_ci_u32_e64 v58, null, s9, 0, s8
	v_add_co_ci_u32_e32 v50, vcc_lo, 0, v48, vcc_lo
	v_add_co_u32 v61, vcc_lo, 0xdd0, v57
	v_add_co_ci_u32_e32 v62, vcc_lo, 0, v58, vcc_lo
	v_add_co_u32 v69, vcc_lo, 0x800, v57
	;; [unrolled: 2-line block ×3, first 2 shown]
	v_add_co_ci_u32_e32 v74, vcc_lo, 0, v58, vcc_lo
	s_clause 0xb
	global_load_dwordx4 v[29:32], v[45:46], off offset:1488
	global_load_dwordx4 v[33:36], v[41:42], off offset:48
	;; [unrolled: 1-line block ×12, first 2 shown]
	v_add_co_u32 v110, vcc_lo, s2, v98
	ds_read2_b64 v[77:80], v100 offset1:119
	v_add_co_ci_u32_e32 v111, vcc_lo, s3, v99, vcc_lo
	ds_read2_b64 v[81:84], v81 offset0:56 offset1:175
	ds_read2_b64 v[85:88], v85 offset0:74 offset1:193
	;; [unrolled: 1-line block ×6, first 2 shown]
	v_lshrrev_b32_e32 v28, 6, v28
	v_lshlrev_b64 v[93:94], 4, v[96:97]
	v_mul_u32_u24_e32 v96, 0x594, v28
	v_add_co_u32 v93, vcc_lo, v110, v93
	v_add_co_ci_u32_e32 v94, vcc_lo, v111, v94, vcc_lo
	v_lshlrev_b64 v[95:96], 4, v[96:97]
	v_add_co_u32 v110, vcc_lo, 0x800, v93
	v_add_co_ci_u32_e32 v111, vcc_lo, 0, v94, vcc_lo
	v_add_co_u32 v112, vcc_lo, 0x1800, v93
	v_add_co_ci_u32_e32 v113, vcc_lo, 0, v94, vcc_lo
	;; [unrolled: 2-line block ×9, first 2 shown]
	s_waitcnt vmcnt(11)
	v_mul_f64 v[134:135], v[6:7], v[29:30]
	s_waitcnt vmcnt(10)
	v_mul_f64 v[126:127], v[14:15], v[33:34]
	;; [unrolled: 2-line block ×6, first 2 shown]
	v_mul_f64 v[10:11], v[10:11], v[39:40]
	v_mul_f64 v[14:15], v[14:15], v[35:36]
	;; [unrolled: 1-line block ×6, first 2 shown]
	s_waitcnt vmcnt(3)
	v_mul_f64 v[142:143], v[16:17], v[61:62]
	s_waitcnt vmcnt(2)
	v_mul_f64 v[144:145], v[24:25], v[65:66]
	;; [unrolled: 2-line block ×4, first 2 shown]
	v_mul_f64 v[16:17], v[16:17], v[63:64]
	v_mul_f64 v[24:25], v[24:25], v[67:68]
	v_mul_f64 v[4:5], v[4:5], v[71:72]
	v_mul_f64 v[20:21], v[20:21], v[75:76]
	v_mul_f64 v[138:139], v[12:13], v[53:54]
	v_mul_f64 v[140:141], v[8:9], v[57:58]
	v_mul_f64 v[8:9], v[8:9], v[59:60]
	v_mul_f64 v[12:13], v[12:13], v[55:56]
	s_waitcnt lgkmcnt(5)
	v_fma_f64 v[35:36], v[83:84], v[35:36], v[126:127]
	s_waitcnt lgkmcnt(4)
	v_fma_f64 v[39:40], v[87:88], v[39:40], v[128:129]
	;; [unrolled: 2-line block ×6, first 2 shown]
	v_fma_f64 v[10:11], v[87:88], v[37:38], -v[10:11]
	v_fma_f64 v[14:15], v[83:84], v[33:34], -v[14:15]
	;; [unrolled: 1-line block ×6, first 2 shown]
	v_fma_f64 v[37:38], v[89:90], v[63:64], v[142:143]
	v_fma_f64 v[41:42], v[98:99], v[67:68], v[144:145]
	v_fma_f64 v[16:17], v[89:90], v[61:62], -v[16:17]
	v_fma_f64 v[24:25], v[98:99], v[65:66], -v[24:25]
	;; [unrolled: 1-line block ×4, first 2 shown]
	v_fma_f64 v[45:46], v[102:103], v[71:72], v[146:147]
	v_fma_f64 v[49:50], v[106:107], v[75:76], v[148:149]
	;; [unrolled: 1-line block ×4, first 2 shown]
	v_fma_f64 v[8:9], v[85:86], v[57:58], -v[8:9]
	v_fma_f64 v[12:13], v[81:82], v[53:54], -v[12:13]
	v_add_f64 v[53:54], v[35:36], -v[39:40]
	v_add_f64 v[55:56], v[43:44], -v[47:48]
	v_add_f64 v[35:36], v[35:36], v[39:40]
	v_add_f64 v[60:61], v[31:32], -v[51:52]
	v_add_f64 v[39:40], v[43:44], v[47:48]
	v_add_f64 v[62:63], v[14:15], v[10:11]
	;; [unrolled: 1-line block ×4, first 2 shown]
	v_add_f64 v[10:11], v[14:15], -v[10:11]
	v_add_f64 v[66:67], v[6:7], v[22:23]
	v_add_f64 v[14:15], v[18:19], -v[26:27]
	v_add_f64 v[6:7], v[6:7], -v[22:23]
	;; [unrolled: 1-line block ×3, first 2 shown]
	v_add_f64 v[18:19], v[16:17], v[24:25]
	v_add_f64 v[37:38], v[37:38], v[41:42]
	;; [unrolled: 1-line block ×3, first 2 shown]
	v_add_co_u32 v58, vcc_lo, 0x3000, v95
	v_add_f64 v[41:42], v[45:46], v[49:50]
	v_add_f64 v[26:27], v[28:29], -v[33:34]
	v_add_f64 v[47:48], v[45:46], -v[49:50]
	v_add_f64 v[51:52], v[12:13], v[8:9]
	v_add_f64 v[28:29], v[28:29], v[33:34]
	v_add_f64 v[8:9], v[12:13], -v[8:9]
	v_add_f64 v[12:13], v[16:17], -v[24:25]
	;; [unrolled: 1-line block ×3, first 2 shown]
	v_add_f64 v[4:5], v[53:54], v[55:56]
	v_add_f64 v[20:21], v[53:54], -v[55:56]
	v_add_f64 v[24:25], v[60:61], -v[53:54]
	;; [unrolled: 1-line block ×4, first 2 shown]
	v_add_f64 v[49:50], v[64:65], v[66:67]
	v_add_f64 v[70:71], v[39:40], v[30:31]
	v_add_f64 v[30:31], v[39:40], -v[30:31]
	v_add_f64 v[32:33], v[62:63], -v[64:65]
	;; [unrolled: 1-line block ×3, first 2 shown]
	v_add_f64 v[72:73], v[10:11], v[14:15]
	v_add_f64 v[81:82], v[18:19], v[22:23]
	v_add_f64 v[74:75], v[10:11], -v[14:15]
	v_add_f64 v[55:56], v[55:56], -v[60:61]
	v_add_f64 v[39:40], v[37:38], v[41:42]
	v_add_f64 v[64:65], v[64:65], -v[66:67]
	v_add_f64 v[66:67], v[26:27], v[43:44]
	v_add_f64 v[83:84], v[26:27], -v[43:44]
	v_add_f64 v[85:86], v[51:52], -v[18:19]
	;; [unrolled: 1-line block ×10, first 2 shown]
	v_add_f64 v[49:50], v[62:63], v[49:50]
	v_add_f64 v[97:98], v[8:9], v[12:13]
	v_add_f64 v[12:13], v[12:13], -v[16:17]
	v_add_f64 v[34:35], v[35:36], v[70:71]
	v_add_f64 v[10:11], v[6:7], -v[10:11]
	v_add_f64 v[26:27], v[47:48], -v[26:27]
	v_add_f64 v[37:38], v[51:52], v[81:82]
	v_add_f64 v[101:102], v[16:17], -v[8:9]
	v_add_f64 v[41:42], v[4:5], v[60:61]
	v_add_f64 v[28:29], v[28:29], v[39:40]
	v_mul_f64 v[20:21], v[20:21], s[14:15]
	v_mul_f64 v[45:46], v[45:46], s[10:11]
	;; [unrolled: 1-line block ×4, first 2 shown]
	v_add_f64 v[70:71], v[72:73], v[6:7]
	v_add_f64 v[47:48], v[66:67], v[47:48]
	v_mul_f64 v[66:67], v[83:84], s[14:15]
	v_mul_f64 v[81:82], v[87:88], s[10:11]
	;; [unrolled: 1-line block ×6, first 2 shown]
	v_add_f64 v[4:5], v[79:80], v[49:50]
	v_mul_f64 v[74:75], v[85:86], s[0:1]
	v_mul_f64 v[91:92], v[12:13], s[4:5]
	;; [unrolled: 1-line block ×4, first 2 shown]
	v_add_f64 v[2:3], v[2:3], v[34:35]
	v_add_f64 v[8:9], v[77:78], v[37:38]
	v_mul_f64 v[76:77], v[99:100], s[14:15]
	v_mul_f64 v[68:69], v[53:54], s[0:1]
	v_add_f64 v[6:7], v[0:1], v[28:29]
	v_add_f64 v[16:17], v[97:98], v[16:17]
	v_fma_f64 v[97:98], v[24:25], s[20:21], v[20:21]
	v_fma_f64 v[32:33], v[32:33], s[0:1], v[45:46]
	;; [unrolled: 1-line block ×3, first 2 shown]
	v_fma_f64 v[24:25], v[24:25], s[22:23], -v[62:63]
	v_fma_f64 v[45:46], v[64:65], s[16:17], -v[45:46]
	;; [unrolled: 1-line block ×4, first 2 shown]
	v_fma_f64 v[39:40], v[26:27], s[20:21], v[66:67]
	v_fma_f64 v[55:56], v[85:86], s[0:1], v[81:82]
	;; [unrolled: 1-line block ×3, first 2 shown]
	v_fma_f64 v[26:27], v[26:27], s[22:23], -v[87:88]
	v_fma_f64 v[49:50], v[49:50], s[6:7], v[4:5]
	v_fma_f64 v[43:44], v[43:44], s[4:5], -v[66:67]
	v_fma_f64 v[10:11], v[10:11], s[22:23], -v[72:73]
	;; [unrolled: 1-line block ×5, first 2 shown]
	v_fma_f64 v[36:37], v[37:38], s[6:7], v[8:9]
	v_fma_f64 v[66:67], v[101:102], s[20:21], v[76:77]
	v_fma_f64 v[72:73], v[101:102], s[22:23], -v[91:92]
	v_fma_f64 v[28:29], v[28:29], s[6:7], v[6:7]
	v_fma_f64 v[74:75], v[22:23], s[16:17], -v[83:84]
	v_fma_f64 v[12:13], v[12:13], s[4:5], -v[76:77]
	;; [unrolled: 1-line block ×3, first 2 shown]
	v_fma_f64 v[53:54], v[53:54], s[0:1], v[60:61]
	v_fma_f64 v[34:35], v[34:35], s[6:7], v[2:3]
	v_fma_f64 v[60:61], v[30:31], s[16:17], -v[60:61]
	v_fma_f64 v[30:31], v[30:31], s[12:13], -v[68:69]
	v_fma_f64 v[68:69], v[41:42], s[18:19], v[97:98]
	v_fma_f64 v[76:77], v[41:42], s[18:19], v[24:25]
	;; [unrolled: 1-line block ×5, first 2 shown]
	v_add_f64 v[78:79], v[32:33], v[49:50]
	v_add_f64 v[32:33], v[45:46], v[49:50]
	v_fma_f64 v[42:43], v[47:48], s[18:19], v[43:44]
	v_add_f64 v[40:41], v[51:52], v[49:50]
	v_fma_f64 v[0:1], v[70:71], s[18:19], v[0:1]
	v_fma_f64 v[10:11], v[70:71], s[18:19], v[10:11]
	v_add_f64 v[46:47], v[55:56], v[36:37]
	v_fma_f64 v[55:56], v[16:17], s[18:19], v[66:67]
	v_add_f64 v[48:49], v[64:65], v[36:37]
	v_add_f64 v[62:63], v[62:63], v[28:29]
	v_fma_f64 v[64:65], v[16:17], s[18:19], v[72:73]
	v_add_f64 v[72:73], v[74:75], v[28:29]
	;; [unrolled: 3-line block ×3, first 2 shown]
	v_fma_f64 v[14:15], v[70:71], s[18:19], v[14:15]
	v_add_f64 v[70:71], v[53:54], v[34:35]
	v_add_f64 v[60:61], v[60:61], v[34:35]
	;; [unrolled: 1-line block ×3, first 2 shown]
	v_add_co_ci_u32_e32 v59, vcc_lo, 0, v96, vcc_lo
	v_add_co_u32 v80, vcc_lo, 0x4000, v95
	v_add_f64 v[16:17], v[76:77], v[32:33]
	v_add_f64 v[28:29], v[32:33], -v[76:77]
	v_add_f64 v[20:21], v[40:41], -v[24:25]
	v_add_f64 v[24:25], v[24:25], v[40:41]
	v_add_f64 v[12:13], v[68:69], v[78:79]
	v_add_f64 v[52:53], v[46:47], -v[38:39]
	v_add_f64 v[32:33], v[38:39], v[46:47]
	v_add_f64 v[36:37], v[26:27], v[48:49]
	;; [unrolled: 1-line block ×3, first 2 shown]
	v_add_f64 v[48:49], v[48:49], -v[26:27]
	v_add_f64 v[46:47], v[64:65], v[72:73]
	v_add_f64 v[40:41], v[18:19], -v[42:43]
	v_add_f64 v[44:45], v[42:43], v[18:19]
	;; [unrolled: 2-line block ×3, first 2 shown]
	v_add_f64 v[34:35], v[72:73], -v[64:65]
	v_add_f64 v[30:31], v[62:63], -v[55:56]
	;; [unrolled: 1-line block ×3, first 2 shown]
	v_add_f64 v[54:55], v[0:1], v[70:71]
	v_add_f64 v[26:27], v[10:11], v[60:61]
	v_add_f64 v[22:23], v[74:75], -v[14:15]
	v_add_f64 v[18:19], v[14:15], v[74:75]
	v_add_f64 v[14:15], v[60:61], -v[10:11]
	v_add_f64 v[10:11], v[70:71], -v[0:1]
	v_add_co_ci_u32_e32 v81, vcc_lo, 0, v96, vcc_lo
	v_add_co_u32 v0, vcc_lo, 0x5000, v95
	v_add_co_ci_u32_e32 v1, vcc_lo, 0, v96, vcc_lo
	v_add_co_u32 v60, vcc_lo, 0x6000, v95
	v_add_co_ci_u32_e32 v61, vcc_lo, 0, v96, vcc_lo
	global_store_dwordx4 v[93:94], v[6:9], off
	global_store_dwordx4 v[110:111], v[50:53], off offset:1760
	global_store_dwordx4 v[112:113], v[46:49], off offset:1472
	global_store_dwordx4 v[114:115], v[42:45], off offset:1184
	global_store_dwordx4 v[116:117], v[38:41], off offset:896
	global_store_dwordx4 v[118:119], v[34:37], off offset:608
	global_store_dwordx4 v[120:121], v[30:33], off offset:320
	global_store_dwordx4 v[95:96], v[2:5], off offset:1904
	global_store_dwordx4 v[122:123], v[54:57], off offset:1616
	global_store_dwordx4 v[124:125], v[26:29], off offset:1328
	global_store_dwordx4 v[58:59], v[22:25], off offset:1040
	global_store_dwordx4 v[80:81], v[18:21], off offset:752
	global_store_dwordx4 v[0:1], v[14:17], off offset:464
	global_store_dwordx4 v[60:61], v[10:13], off offset:176
.LBB0_17:
	s_endpgm
	.section	.rodata,"a",@progbits
	.p2align	6, 0x0
	.amdhsa_kernel fft_rtc_back_len1666_factors_17_2_7_7_wgs_119_tpt_119_halfLds_dp_ip_CI_unitstride_sbrr_dirReg
		.amdhsa_group_segment_fixed_size 0
		.amdhsa_private_segment_fixed_size 0
		.amdhsa_kernarg_size 88
		.amdhsa_user_sgpr_count 6
		.amdhsa_user_sgpr_private_segment_buffer 1
		.amdhsa_user_sgpr_dispatch_ptr 0
		.amdhsa_user_sgpr_queue_ptr 0
		.amdhsa_user_sgpr_kernarg_segment_ptr 1
		.amdhsa_user_sgpr_dispatch_id 0
		.amdhsa_user_sgpr_flat_scratch_init 0
		.amdhsa_user_sgpr_private_segment_size 0
		.amdhsa_wavefront_size32 1
		.amdhsa_uses_dynamic_stack 0
		.amdhsa_system_sgpr_private_segment_wavefront_offset 0
		.amdhsa_system_sgpr_workgroup_id_x 1
		.amdhsa_system_sgpr_workgroup_id_y 0
		.amdhsa_system_sgpr_workgroup_id_z 0
		.amdhsa_system_sgpr_workgroup_info 0
		.amdhsa_system_vgpr_workitem_id 0
		.amdhsa_next_free_vgpr 248
		.amdhsa_next_free_sgpr 56
		.amdhsa_reserve_vcc 1
		.amdhsa_reserve_flat_scratch 0
		.amdhsa_float_round_mode_32 0
		.amdhsa_float_round_mode_16_64 0
		.amdhsa_float_denorm_mode_32 3
		.amdhsa_float_denorm_mode_16_64 3
		.amdhsa_dx10_clamp 1
		.amdhsa_ieee_mode 1
		.amdhsa_fp16_overflow 0
		.amdhsa_workgroup_processor_mode 1
		.amdhsa_memory_ordered 1
		.amdhsa_forward_progress 0
		.amdhsa_shared_vgpr_count 0
		.amdhsa_exception_fp_ieee_invalid_op 0
		.amdhsa_exception_fp_denorm_src 0
		.amdhsa_exception_fp_ieee_div_zero 0
		.amdhsa_exception_fp_ieee_overflow 0
		.amdhsa_exception_fp_ieee_underflow 0
		.amdhsa_exception_fp_ieee_inexact 0
		.amdhsa_exception_int_div_zero 0
	.end_amdhsa_kernel
	.text
.Lfunc_end0:
	.size	fft_rtc_back_len1666_factors_17_2_7_7_wgs_119_tpt_119_halfLds_dp_ip_CI_unitstride_sbrr_dirReg, .Lfunc_end0-fft_rtc_back_len1666_factors_17_2_7_7_wgs_119_tpt_119_halfLds_dp_ip_CI_unitstride_sbrr_dirReg
                                        ; -- End function
	.section	.AMDGPU.csdata,"",@progbits
; Kernel info:
; codeLenInByte = 14472
; NumSgprs: 58
; NumVgprs: 248
; ScratchSize: 0
; MemoryBound: 1
; FloatMode: 240
; IeeeMode: 1
; LDSByteSize: 0 bytes/workgroup (compile time only)
; SGPRBlocks: 7
; VGPRBlocks: 30
; NumSGPRsForWavesPerEU: 58
; NumVGPRsForWavesPerEU: 248
; Occupancy: 4
; WaveLimiterHint : 1
; COMPUTE_PGM_RSRC2:SCRATCH_EN: 0
; COMPUTE_PGM_RSRC2:USER_SGPR: 6
; COMPUTE_PGM_RSRC2:TRAP_HANDLER: 0
; COMPUTE_PGM_RSRC2:TGID_X_EN: 1
; COMPUTE_PGM_RSRC2:TGID_Y_EN: 0
; COMPUTE_PGM_RSRC2:TGID_Z_EN: 0
; COMPUTE_PGM_RSRC2:TIDIG_COMP_CNT: 0
	.text
	.p2alignl 6, 3214868480
	.fill 48, 4, 3214868480
	.type	__hip_cuid_afce77769cb42476,@object ; @__hip_cuid_afce77769cb42476
	.section	.bss,"aw",@nobits
	.globl	__hip_cuid_afce77769cb42476
__hip_cuid_afce77769cb42476:
	.byte	0                               ; 0x0
	.size	__hip_cuid_afce77769cb42476, 1

	.ident	"AMD clang version 19.0.0git (https://github.com/RadeonOpenCompute/llvm-project roc-6.4.0 25133 c7fe45cf4b819c5991fe208aaa96edf142730f1d)"
	.section	".note.GNU-stack","",@progbits
	.addrsig
	.addrsig_sym __hip_cuid_afce77769cb42476
	.amdgpu_metadata
---
amdhsa.kernels:
  - .args:
      - .actual_access:  read_only
        .address_space:  global
        .offset:         0
        .size:           8
        .value_kind:     global_buffer
      - .offset:         8
        .size:           8
        .value_kind:     by_value
      - .actual_access:  read_only
        .address_space:  global
        .offset:         16
        .size:           8
        .value_kind:     global_buffer
      - .actual_access:  read_only
        .address_space:  global
        .offset:         24
        .size:           8
        .value_kind:     global_buffer
      - .offset:         32
        .size:           8
        .value_kind:     by_value
      - .actual_access:  read_only
        .address_space:  global
        .offset:         40
        .size:           8
        .value_kind:     global_buffer
      - .actual_access:  read_only
        .address_space:  global
        .offset:         48
        .size:           8
        .value_kind:     global_buffer
      - .offset:         56
        .size:           4
        .value_kind:     by_value
      - .actual_access:  read_only
        .address_space:  global
        .offset:         64
        .size:           8
        .value_kind:     global_buffer
      - .actual_access:  read_only
        .address_space:  global
        .offset:         72
        .size:           8
        .value_kind:     global_buffer
      - .address_space:  global
        .offset:         80
        .size:           8
        .value_kind:     global_buffer
    .group_segment_fixed_size: 0
    .kernarg_segment_align: 8
    .kernarg_segment_size: 88
    .language:       OpenCL C
    .language_version:
      - 2
      - 0
    .max_flat_workgroup_size: 119
    .name:           fft_rtc_back_len1666_factors_17_2_7_7_wgs_119_tpt_119_halfLds_dp_ip_CI_unitstride_sbrr_dirReg
    .private_segment_fixed_size: 0
    .sgpr_count:     58
    .sgpr_spill_count: 0
    .symbol:         fft_rtc_back_len1666_factors_17_2_7_7_wgs_119_tpt_119_halfLds_dp_ip_CI_unitstride_sbrr_dirReg.kd
    .uniform_work_group_size: 1
    .uses_dynamic_stack: false
    .vgpr_count:     248
    .vgpr_spill_count: 0
    .wavefront_size: 32
    .workgroup_processor_mode: 1
amdhsa.target:   amdgcn-amd-amdhsa--gfx1030
amdhsa.version:
  - 1
  - 2
...

	.end_amdgpu_metadata
